;; amdgpu-corpus repo=ROCm/rocFFT kind=compiled arch=gfx906 opt=O3
	.text
	.amdgcn_target "amdgcn-amd-amdhsa--gfx906"
	.amdhsa_code_object_version 6
	.protected	bluestein_single_fwd_len3125_dim1_dp_op_CI_CI ; -- Begin function bluestein_single_fwd_len3125_dim1_dp_op_CI_CI
	.globl	bluestein_single_fwd_len3125_dim1_dp_op_CI_CI
	.p2align	8
	.type	bluestein_single_fwd_len3125_dim1_dp_op_CI_CI,@function
bluestein_single_fwd_len3125_dim1_dp_op_CI_CI: ; @bluestein_single_fwd_len3125_dim1_dp_op_CI_CI
; %bb.0:
	s_load_dwordx4 s[12:15], s[4:5], 0x28
	s_mov_b64 s[26:27], s[2:3]
	v_mul_u32_u24_e32 v3, 0x20d, v0
	s_mov_b64 s[24:25], s[0:1]
	v_add_u32_sdwa v1, s6, v3 dst_sel:DWORD dst_unused:UNUSED_PAD src0_sel:DWORD src1_sel:WORD_1
	v_mov_b32_e32 v2, 0
	s_add_u32 s24, s24, s7
	s_waitcnt lgkmcnt(0)
	v_cmp_gt_u64_e32 vcc, s[12:13], v[1:2]
	s_addc_u32 s25, s25, 0
	s_and_saveexec_b64 s[0:1], vcc
	s_cbranch_execz .LBB0_2
; %bb.1:
	s_load_dwordx4 s[8:11], s[4:5], 0x0
	s_load_dwordx4 s[20:23], s[4:5], 0x18
	s_load_dwordx2 s[12:13], s[4:5], 0x38
	s_movk_i32 s17, 0x7d
	v_mul_lo_u16_sdwa v2, v3, s17 dst_sel:DWORD dst_unused:UNUSED_PAD src0_sel:WORD_1 src1_sel:DWORD
	v_sub_u16_e32 v158, v0, v2
	s_waitcnt lgkmcnt(0)
	s_load_dwordx4 s[0:3], s[22:23], 0x0
	v_lshlrev_b32_e32 v116, 4, v158
	s_movk_i32 s16, 0x2000
                                        ; kill: killed $sgpr8_sgpr9
	s_movk_i32 s18, 0xcd
	v_mov_b32_e32 v176, v158
	s_waitcnt lgkmcnt(0)
	v_mad_u64_u32 v[4:5], s[4:5], s2, v1, 0
	v_mov_b32_e32 v0, v5
	v_mad_u64_u32 v[2:3], s[2:3], s3, v1, v[0:1]
	v_mov_b32_e32 v5, v2
	buffer_store_dword v4, off, s[24:27], 0 offset:48 ; 4-byte Folded Spill
	s_nop 0
	buffer_store_dword v5, off, s[24:27], 0 offset:52 ; 4-byte Folded Spill
	global_load_dwordx4 v[10:13], v116, s[8:9]
	s_load_dwordx4 s[4:7], s[20:21], 0x0
	s_waitcnt lgkmcnt(0)
	v_mad_u64_u32 v[2:3], s[2:3], s6, v1, 0
	s_movk_i32 s6, 0x4000
	v_mov_b32_e32 v0, v3
	v_mad_u64_u32 v[0:1], s[2:3], s7, v1, v[0:1]
	s_mov_b32 s7, 0xbfe2cf23
	v_mov_b32_e32 v3, v0
	v_mad_u64_u32 v[0:1], s[2:3], s4, v158, 0
	v_mad_u64_u32 v[4:5], s[2:3], s5, v158, v[1:2]
	v_lshlrev_b64 v[2:3], 4, v[2:3]
	s_mul_i32 s2, s5, 0x2710
	v_mov_b32_e32 v1, v4
	v_add_co_u32_e32 v2, vcc, s14, v2
	v_mov_b32_e32 v4, s15
	v_lshlrev_b64 v[0:1], 4, v[0:1]
	v_addc_co_u32_e32 v3, vcc, v4, v3, vcc
	v_add_co_u32_e32 v8, vcc, v2, v0
	v_addc_co_u32_e32 v9, vcc, v3, v1, vcc
	global_load_dwordx4 v[0:3], v[8:9], off
	v_add_co_u32_e32 v140, vcc, s8, v116
	v_mov_b32_e32 v4, s9
	v_addc_co_u32_e32 v117, vcc, 0, v4, vcc
	s_mul_hi_u32 s3, s4, 0x2710
	s_add_i32 s2, s3, s2
	s_mul_i32 s3, s4, 0x2710
	v_add_co_u32_e32 v8, vcc, s3, v8
	s_mul_i32 s5, s5, 0xffff6b90
	s_mov_b32 s15, 0xbfee6f0e
	s_waitcnt vmcnt(1)
	buffer_store_dword v10, off, s[24:27], 0 offset:280 ; 4-byte Folded Spill
	s_nop 0
	buffer_store_dword v11, off, s[24:27], 0 offset:284 ; 4-byte Folded Spill
	buffer_store_dword v12, off, s[24:27], 0 offset:288 ; 4-byte Folded Spill
	;; [unrolled: 1-line block ×3, first 2 shown]
	s_waitcnt vmcnt(4)
	v_mul_f64 v[4:5], v[2:3], v[12:13]
	v_fma_f64 v[4:5], v[0:1], v[10:11], v[4:5]
	v_mul_f64 v[0:1], v[0:1], v[12:13]
	v_fma_f64 v[6:7], v[2:3], v[10:11], -v[0:1]
	v_mov_b32_e32 v0, s2
	v_addc_co_u32_e32 v9, vcc, v9, v0, vcc
	v_add_co_u32_e32 v12, vcc, s16, v140
	v_addc_co_u32_e32 v13, vcc, 0, v117, vcc
	global_load_dwordx4 v[14:17], v[12:13], off offset:1808
	global_load_dwordx4 v[0:3], v[8:9], off
	ds_write_b128 v116, v[4:7]
	v_add_co_u32_e32 v10, vcc, s3, v8
                                        ; kill: killed $vgpr12 killed $vgpr13
	s_waitcnt vmcnt(1)
	buffer_store_dword v14, off, s[24:27], 0 offset:312 ; 4-byte Folded Spill
	s_nop 0
	buffer_store_dword v15, off, s[24:27], 0 offset:316 ; 4-byte Folded Spill
	buffer_store_dword v16, off, s[24:27], 0 offset:320 ; 4-byte Folded Spill
	;; [unrolled: 1-line block ×3, first 2 shown]
	s_waitcnt vmcnt(4)
	v_mul_f64 v[4:5], v[2:3], v[16:17]
	v_fma_f64 v[4:5], v[0:1], v[14:15], v[4:5]
	v_mul_f64 v[0:1], v[0:1], v[16:17]
	v_fma_f64 v[6:7], v[2:3], v[14:15], -v[0:1]
	v_mov_b32_e32 v0, s2
	v_addc_co_u32_e32 v11, vcc, v9, v0, vcc
	v_add_co_u32_e32 v0, vcc, s6, v140
	v_addc_co_u32_e32 v1, vcc, 0, v117, vcc
	global_load_dwordx4 v[14:17], v[0:1], off offset:3616
	ds_write_b128 v116, v[4:7] offset:10000
	global_load_dwordx4 v[2:5], v[10:11], off
	v_add_co_u32_e32 v10, vcc, s3, v10
	s_movk_i32 s6, 0x7000
                                        ; kill: killed $vgpr0 killed $vgpr1
	s_waitcnt vmcnt(1)
	buffer_store_dword v14, off, s[24:27], 0 offset:360 ; 4-byte Folded Spill
	s_nop 0
	buffer_store_dword v15, off, s[24:27], 0 offset:364 ; 4-byte Folded Spill
	buffer_store_dword v16, off, s[24:27], 0 offset:368 ; 4-byte Folded Spill
	;; [unrolled: 1-line block ×3, first 2 shown]
	s_waitcnt vmcnt(4)
	v_mul_f64 v[6:7], v[4:5], v[16:17]
	v_fma_f64 v[6:7], v[2:3], v[14:15], v[6:7]
	v_mul_f64 v[2:3], v[2:3], v[16:17]
	v_fma_f64 v[8:9], v[4:5], v[14:15], -v[2:3]
	v_mov_b32_e32 v2, s2
	v_addc_co_u32_e32 v11, vcc, v11, v2, vcc
	v_add_co_u32_e32 v14, vcc, s6, v140
	v_addc_co_u32_e32 v15, vcc, 0, v117, vcc
	global_load_dwordx4 v[16:19], v[14:15], off offset:1328
	global_load_dwordx4 v[2:5], v[10:11], off
	ds_write_b128 v116, v[6:9] offset:20000
	s_mov_b32 s6, 0x9000
                                        ; kill: killed $vgpr14 killed $vgpr15
	s_waitcnt vmcnt(1)
	buffer_store_dword v16, off, s[24:27], 0 offset:376 ; 4-byte Folded Spill
	s_nop 0
	buffer_store_dword v17, off, s[24:27], 0 offset:380 ; 4-byte Folded Spill
	buffer_store_dword v18, off, s[24:27], 0 offset:384 ; 4-byte Folded Spill
	buffer_store_dword v19, off, s[24:27], 0 offset:388 ; 4-byte Folded Spill
	s_waitcnt vmcnt(4)
	v_mul_f64 v[6:7], v[4:5], v[18:19]
	v_fma_f64 v[6:7], v[2:3], v[16:17], v[6:7]
	v_mul_f64 v[2:3], v[2:3], v[18:19]
	v_fma_f64 v[8:9], v[4:5], v[16:17], -v[2:3]
	v_add_co_u32_e32 v16, vcc, s3, v10
	v_mov_b32_e32 v2, s2
	v_addc_co_u32_e32 v17, vcc, v11, v2, vcc
	v_add_co_u32_e32 v2, vcc, s6, v140
	v_addc_co_u32_e32 v3, vcc, 0, v117, vcc
	global_load_dwordx4 v[18:21], v[2:3], off offset:3136
	ds_write_b128 v116, v[6:9] offset:30000
	global_load_dwordx4 v[4:7], v[16:17], off
	s_mul_hi_u32 s6, s4, 0xffff6b90
	s_sub_i32 s6, s6, s4
	v_add_co_u32_e32 v152, vcc, s17, v158
	s_add_i32 s5, s6, s5
	s_mul_i32 s4, s4, 0xffff6b90
	v_add_co_u32_e32 v16, vcc, s4, v16
	s_movk_i32 s6, 0x5000
                                        ; kill: killed $vgpr2 killed $vgpr3
	s_waitcnt vmcnt(1)
	buffer_store_dword v18, off, s[24:27], 0 offset:392 ; 4-byte Folded Spill
	s_nop 0
	buffer_store_dword v19, off, s[24:27], 0 offset:396 ; 4-byte Folded Spill
	buffer_store_dword v20, off, s[24:27], 0 offset:400 ; 4-byte Folded Spill
	;; [unrolled: 1-line block ×3, first 2 shown]
	s_waitcnt vmcnt(4)
	v_mul_f64 v[8:9], v[6:7], v[20:21]
	v_fma_f64 v[8:9], v[4:5], v[18:19], v[8:9]
	v_mul_f64 v[4:5], v[4:5], v[20:21]
	v_fma_f64 v[10:11], v[6:7], v[18:19], -v[4:5]
	v_mov_b32_e32 v4, s5
	v_addc_co_u32_e32 v17, vcc, v17, v4, vcc
	ds_write_b128 v116, v[8:11] offset:40000
	global_load_dwordx4 v[4:7], v[16:17], off
	global_load_dwordx4 v[18:21], v116, s[8:9] offset:2000
	v_add_co_u32_e32 v16, vcc, s3, v16
	s_waitcnt vmcnt(0)
	buffer_store_dword v18, off, s[24:27], 0 offset:120 ; 4-byte Folded Spill
	s_nop 0
	buffer_store_dword v19, off, s[24:27], 0 offset:124 ; 4-byte Folded Spill
	buffer_store_dword v20, off, s[24:27], 0 offset:128 ; 4-byte Folded Spill
	;; [unrolled: 1-line block ×3, first 2 shown]
	v_mul_f64 v[8:9], v[6:7], v[20:21]
	v_fma_f64 v[8:9], v[4:5], v[18:19], v[8:9]
	v_mul_f64 v[4:5], v[4:5], v[20:21]
	v_fma_f64 v[10:11], v[6:7], v[18:19], -v[4:5]
	v_mov_b32_e32 v4, s2
	v_addc_co_u32_e32 v17, vcc, v17, v4, vcc
	ds_write_b128 v116, v[8:11] offset:2000
	global_load_dwordx4 v[4:7], v[16:17], off
	global_load_dwordx4 v[18:21], v[12:13], off offset:3808
	v_add_co_u32_e32 v12, vcc, s3, v16
	s_waitcnt vmcnt(0)
	buffer_store_dword v18, off, s[24:27], 0 offset:104 ; 4-byte Folded Spill
	s_nop 0
	buffer_store_dword v19, off, s[24:27], 0 offset:108 ; 4-byte Folded Spill
	buffer_store_dword v20, off, s[24:27], 0 offset:112 ; 4-byte Folded Spill
	;; [unrolled: 1-line block ×3, first 2 shown]
	v_mul_f64 v[8:9], v[6:7], v[20:21]
	v_fma_f64 v[8:9], v[4:5], v[18:19], v[8:9]
	v_mul_f64 v[4:5], v[4:5], v[20:21]
	v_fma_f64 v[10:11], v[6:7], v[18:19], -v[4:5]
	v_mov_b32_e32 v4, s2
	v_addc_co_u32_e32 v13, vcc, v17, v4, vcc
	v_add_co_u32_e32 v16, vcc, s6, v140
	v_addc_co_u32_e32 v17, vcc, 0, v117, vcc
	global_load_dwordx4 v[18:21], v[16:17], off offset:1520
	global_load_dwordx4 v[4:7], v[12:13], off
	ds_write_b128 v116, v[8:11] offset:12000
	v_add_co_u32_e32 v12, vcc, s3, v12
	s_mov_b32 s6, 0xa000
                                        ; kill: killed $vgpr16 killed $vgpr17
	s_waitcnt vmcnt(1)
	buffer_store_dword v18, off, s[24:27], 0 offset:168 ; 4-byte Folded Spill
	s_nop 0
	buffer_store_dword v19, off, s[24:27], 0 offset:172 ; 4-byte Folded Spill
	buffer_store_dword v20, off, s[24:27], 0 offset:176 ; 4-byte Folded Spill
	;; [unrolled: 1-line block ×3, first 2 shown]
	s_waitcnt vmcnt(4)
	v_mul_f64 v[8:9], v[6:7], v[20:21]
	v_fma_f64 v[8:9], v[4:5], v[18:19], v[8:9]
	v_mul_f64 v[4:5], v[4:5], v[20:21]
	v_fma_f64 v[10:11], v[6:7], v[18:19], -v[4:5]
	v_mov_b32_e32 v4, s2
	v_addc_co_u32_e32 v13, vcc, v13, v4, vcc
	ds_write_b128 v116, v[8:11] offset:22000
	global_load_dwordx4 v[4:7], v[12:13], off
	global_load_dwordx4 v[18:21], v[14:15], off offset:3328
	v_add_co_u32_e32 v12, vcc, s3, v12
	s_waitcnt vmcnt(0)
	buffer_store_dword v18, off, s[24:27], 0 offset:200 ; 4-byte Folded Spill
	s_nop 0
	buffer_store_dword v19, off, s[24:27], 0 offset:204 ; 4-byte Folded Spill
	buffer_store_dword v20, off, s[24:27], 0 offset:208 ; 4-byte Folded Spill
	;; [unrolled: 1-line block ×3, first 2 shown]
	v_mul_f64 v[8:9], v[6:7], v[20:21]
	v_fma_f64 v[8:9], v[4:5], v[18:19], v[8:9]
	v_mul_f64 v[4:5], v[4:5], v[20:21]
	v_fma_f64 v[10:11], v[6:7], v[18:19], -v[4:5]
	v_mov_b32_e32 v4, s2
	v_addc_co_u32_e32 v13, vcc, v13, v4, vcc
	v_add_co_u32_e32 v14, vcc, s6, v140
	v_addc_co_u32_e32 v15, vcc, 0, v117, vcc
	global_load_dwordx4 v[18:21], v[14:15], off offset:1040
	global_load_dwordx4 v[4:7], v[12:13], off
	ds_write_b128 v116, v[8:11] offset:32000
	s_movk_i32 s6, 0xfa
	v_add_co_u32_e32 v153, vcc, s6, v158
	v_add_co_u32_e32 v12, vcc, s4, v12
	s_movk_i32 s6, 0x3000
                                        ; kill: killed $vgpr14 killed $vgpr15
	s_waitcnt vmcnt(1)
	buffer_store_dword v18, off, s[24:27], 0 offset:344 ; 4-byte Folded Spill
	s_nop 0
	buffer_store_dword v19, off, s[24:27], 0 offset:348 ; 4-byte Folded Spill
	buffer_store_dword v20, off, s[24:27], 0 offset:352 ; 4-byte Folded Spill
	;; [unrolled: 1-line block ×3, first 2 shown]
	s_waitcnt vmcnt(4)
	v_mul_f64 v[8:9], v[6:7], v[20:21]
	v_fma_f64 v[8:9], v[4:5], v[18:19], v[8:9]
	v_mul_f64 v[4:5], v[4:5], v[20:21]
	v_fma_f64 v[10:11], v[6:7], v[18:19], -v[4:5]
	v_mov_b32_e32 v4, s5
	v_addc_co_u32_e32 v13, vcc, v13, v4, vcc
	ds_write_b128 v116, v[8:11] offset:42000
	global_load_dwordx4 v[4:7], v[12:13], off
	global_load_dwordx4 v[18:21], v116, s[8:9] offset:4000
	v_add_co_u32_e32 v12, vcc, s3, v12
	s_mov_b32 s8, 0x4755a5e
	s_mov_b32 s9, 0x3fe2cf23
	s_waitcnt vmcnt(0)
	buffer_store_dword v18, off, s[24:27], 0 offset:328 ; 4-byte Folded Spill
	s_nop 0
	buffer_store_dword v19, off, s[24:27], 0 offset:332 ; 4-byte Folded Spill
	buffer_store_dword v20, off, s[24:27], 0 offset:336 ; 4-byte Folded Spill
	;; [unrolled: 1-line block ×3, first 2 shown]
	v_mul_f64 v[8:9], v[6:7], v[20:21]
	v_fma_f64 v[8:9], v[4:5], v[18:19], v[8:9]
	v_mul_f64 v[4:5], v[4:5], v[20:21]
	v_fma_f64 v[10:11], v[6:7], v[18:19], -v[4:5]
	v_mov_b32_e32 v4, s2
	v_addc_co_u32_e32 v13, vcc, v13, v4, vcc
	v_add_co_u32_e32 v18, vcc, s6, v140
	v_addc_co_u32_e32 v19, vcc, 0, v117, vcc
	global_load_dwordx4 v[20:23], v[18:19], off offset:1712
	global_load_dwordx4 v[4:7], v[12:13], off
	ds_write_b128 v116, v[8:11] offset:4000
	v_add_co_u32_e32 v12, vcc, s3, v12
	s_mov_b32 s6, 0x8000
                                        ; kill: killed $vgpr18 killed $vgpr19
	s_waitcnt vmcnt(1)
	buffer_store_dword v20, off, s[24:27], 0 offset:296 ; 4-byte Folded Spill
	s_nop 0
	buffer_store_dword v21, off, s[24:27], 0 offset:300 ; 4-byte Folded Spill
	buffer_store_dword v22, off, s[24:27], 0 offset:304 ; 4-byte Folded Spill
	;; [unrolled: 1-line block ×3, first 2 shown]
	s_waitcnt vmcnt(4)
	v_mul_f64 v[8:9], v[6:7], v[22:23]
	v_fma_f64 v[8:9], v[4:5], v[20:21], v[8:9]
	v_mul_f64 v[4:5], v[4:5], v[22:23]
	v_fma_f64 v[10:11], v[6:7], v[20:21], -v[4:5]
	v_mov_b32_e32 v4, s2
	v_addc_co_u32_e32 v13, vcc, v13, v4, vcc
	ds_write_b128 v116, v[8:11] offset:14000
	global_load_dwordx4 v[4:7], v[12:13], off
	global_load_dwordx4 v[20:23], v[16:17], off offset:3520
	v_add_co_u32_e32 v12, vcc, s3, v12
	s_waitcnt vmcnt(0)
	buffer_store_dword v20, off, s[24:27], 0 offset:264 ; 4-byte Folded Spill
	s_nop 0
	buffer_store_dword v21, off, s[24:27], 0 offset:268 ; 4-byte Folded Spill
	buffer_store_dword v22, off, s[24:27], 0 offset:272 ; 4-byte Folded Spill
	;; [unrolled: 1-line block ×3, first 2 shown]
	v_mul_f64 v[8:9], v[6:7], v[22:23]
	v_fma_f64 v[8:9], v[4:5], v[20:21], v[8:9]
	v_mul_f64 v[4:5], v[4:5], v[22:23]
	v_fma_f64 v[10:11], v[6:7], v[20:21], -v[4:5]
	v_mov_b32_e32 v4, s2
	v_addc_co_u32_e32 v13, vcc, v13, v4, vcc
	v_add_co_u32_e32 v16, vcc, s6, v140
	v_addc_co_u32_e32 v17, vcc, 0, v117, vcc
	global_load_dwordx4 v[20:23], v[16:17], off offset:1232
	global_load_dwordx4 v[4:7], v[12:13], off
	ds_write_b128 v116, v[8:11] offset:24000
	v_add_co_u32_e32 v12, vcc, s3, v12
	s_movk_i32 s6, 0x177
                                        ; kill: killed $vgpr16 killed $vgpr17
	s_waitcnt vmcnt(1)
	buffer_store_dword v20, off, s[24:27], 0 offset:248 ; 4-byte Folded Spill
	s_nop 0
	buffer_store_dword v21, off, s[24:27], 0 offset:252 ; 4-byte Folded Spill
	buffer_store_dword v22, off, s[24:27], 0 offset:256 ; 4-byte Folded Spill
	;; [unrolled: 1-line block ×3, first 2 shown]
	s_waitcnt vmcnt(4)
	v_mul_f64 v[8:9], v[6:7], v[22:23]
	v_fma_f64 v[8:9], v[4:5], v[20:21], v[8:9]
	v_mul_f64 v[4:5], v[4:5], v[22:23]
	v_fma_f64 v[10:11], v[6:7], v[20:21], -v[4:5]
	v_mov_b32_e32 v4, s2
	v_addc_co_u32_e32 v13, vcc, v13, v4, vcc
	v_add_co_u32_e32 v154, vcc, s6, v158
	s_movk_i32 s6, 0x1000
	ds_write_b128 v116, v[8:11] offset:34000
	global_load_dwordx4 v[4:7], v[12:13], off
	global_load_dwordx4 v[20:23], v[14:15], off offset:3040
	v_add_co_u32_e32 v12, vcc, s4, v12
	s_waitcnt vmcnt(0)
	buffer_store_dword v20, off, s[24:27], 0 offset:232 ; 4-byte Folded Spill
	s_nop 0
	buffer_store_dword v21, off, s[24:27], 0 offset:236 ; 4-byte Folded Spill
	buffer_store_dword v22, off, s[24:27], 0 offset:240 ; 4-byte Folded Spill
	;; [unrolled: 1-line block ×3, first 2 shown]
	v_mul_f64 v[8:9], v[6:7], v[22:23]
	v_fma_f64 v[8:9], v[4:5], v[20:21], v[8:9]
	v_mul_f64 v[4:5], v[4:5], v[22:23]
	v_fma_f64 v[10:11], v[6:7], v[20:21], -v[4:5]
	v_mov_b32_e32 v4, s5
	v_addc_co_u32_e32 v13, vcc, v13, v4, vcc
	v_add_co_u32_e32 v14, vcc, s6, v140
	v_addc_co_u32_e32 v15, vcc, 0, v117, vcc
	global_load_dwordx4 v[20:23], v[14:15], off offset:1904
	global_load_dwordx4 v[4:7], v[12:13], off
	ds_write_b128 v116, v[8:11] offset:44000
	v_add_co_u32_e32 v12, vcc, s3, v12
	s_movk_i32 s6, 0x6000
                                        ; kill: killed $vgpr14 killed $vgpr15
	s_waitcnt vmcnt(1)
	buffer_store_dword v20, off, s[24:27], 0 offset:216 ; 4-byte Folded Spill
	s_nop 0
	buffer_store_dword v21, off, s[24:27], 0 offset:220 ; 4-byte Folded Spill
	buffer_store_dword v22, off, s[24:27], 0 offset:224 ; 4-byte Folded Spill
	;; [unrolled: 1-line block ×3, first 2 shown]
	s_waitcnt vmcnt(4)
	v_mul_f64 v[8:9], v[6:7], v[22:23]
	v_fma_f64 v[8:9], v[4:5], v[20:21], v[8:9]
	v_mul_f64 v[4:5], v[4:5], v[22:23]
	v_fma_f64 v[10:11], v[6:7], v[20:21], -v[4:5]
	v_mov_b32_e32 v4, s2
	v_addc_co_u32_e32 v13, vcc, v13, v4, vcc
	ds_write_b128 v116, v[8:11] offset:6000
	global_load_dwordx4 v[4:7], v[12:13], off
	global_load_dwordx4 v[20:23], v[18:19], off offset:3712
	v_add_co_u32_e32 v12, vcc, s3, v12
	s_waitcnt vmcnt(0)
	buffer_store_dword v20, off, s[24:27], 0 offset:184 ; 4-byte Folded Spill
	s_nop 0
	buffer_store_dword v21, off, s[24:27], 0 offset:188 ; 4-byte Folded Spill
	buffer_store_dword v22, off, s[24:27], 0 offset:192 ; 4-byte Folded Spill
	;; [unrolled: 1-line block ×3, first 2 shown]
	v_mul_f64 v[8:9], v[6:7], v[22:23]
	v_fma_f64 v[8:9], v[4:5], v[20:21], v[8:9]
	v_mul_f64 v[4:5], v[4:5], v[22:23]
	v_fma_f64 v[10:11], v[6:7], v[20:21], -v[4:5]
	v_mov_b32_e32 v4, s2
	v_addc_co_u32_e32 v13, vcc, v13, v4, vcc
	v_add_co_u32_e32 v18, vcc, s6, v140
	v_addc_co_u32_e32 v19, vcc, 0, v117, vcc
	global_load_dwordx4 v[20:23], v[18:19], off offset:1424
	global_load_dwordx4 v[4:7], v[12:13], off
	ds_write_b128 v116, v[8:11] offset:16000
	v_add_co_u32_e32 v12, vcc, s3, v12
	s_mov_b32 s6, 0xb000
                                        ; kill: killed $vgpr18 killed $vgpr19
	s_waitcnt vmcnt(1)
	buffer_store_dword v20, off, s[24:27], 0 offset:152 ; 4-byte Folded Spill
	s_nop 0
	buffer_store_dword v21, off, s[24:27], 0 offset:156 ; 4-byte Folded Spill
	buffer_store_dword v22, off, s[24:27], 0 offset:160 ; 4-byte Folded Spill
	;; [unrolled: 1-line block ×3, first 2 shown]
	s_waitcnt vmcnt(4)
	v_mul_f64 v[8:9], v[6:7], v[22:23]
	v_fma_f64 v[8:9], v[4:5], v[20:21], v[8:9]
	v_mul_f64 v[4:5], v[4:5], v[22:23]
	v_fma_f64 v[10:11], v[6:7], v[20:21], -v[4:5]
	v_mov_b32_e32 v4, s2
	v_addc_co_u32_e32 v13, vcc, v13, v4, vcc
	ds_write_b128 v116, v[8:11] offset:26000
	global_load_dwordx4 v[4:7], v[12:13], off
	global_load_dwordx4 v[20:23], v[16:17], off offset:3232
	v_add_co_u32_e32 v16, vcc, s3, v12
	s_waitcnt vmcnt(0)
	buffer_store_dword v20, off, s[24:27], 0 offset:136 ; 4-byte Folded Spill
	s_nop 0
	buffer_store_dword v21, off, s[24:27], 0 offset:140 ; 4-byte Folded Spill
	buffer_store_dword v22, off, s[24:27], 0 offset:144 ; 4-byte Folded Spill
	buffer_store_dword v23, off, s[24:27], 0 offset:148 ; 4-byte Folded Spill
	v_mul_f64 v[8:9], v[6:7], v[22:23]
	v_fma_f64 v[8:9], v[4:5], v[20:21], v[8:9]
	v_mul_f64 v[4:5], v[4:5], v[22:23]
	v_fma_f64 v[10:11], v[6:7], v[20:21], -v[4:5]
	v_mov_b32_e32 v4, s2
	v_addc_co_u32_e32 v17, vcc, v13, v4, vcc
	v_add_co_u32_e32 v4, vcc, s6, v140
	v_addc_co_u32_e32 v5, vcc, 0, v117, vcc
	global_load_dwordx4 v[20:23], v[4:5], off offset:944
	ds_write_b128 v116, v[8:11] offset:36000
	global_load_dwordx4 v[6:9], v[16:17], off
	s_movk_i32 s6, 0x1f4
	v_add_co_u32_e32 v155, vcc, s6, v158
	v_add_co_u32_e32 v16, vcc, s4, v16
                                        ; kill: killed $vgpr4 killed $vgpr5
	s_mov_b32 s6, s8
	s_waitcnt vmcnt(1)
	buffer_store_dword v20, off, s[24:27], 0 offset:88 ; 4-byte Folded Spill
	s_nop 0
	buffer_store_dword v21, off, s[24:27], 0 offset:92 ; 4-byte Folded Spill
	buffer_store_dword v22, off, s[24:27], 0 offset:96 ; 4-byte Folded Spill
	;; [unrolled: 1-line block ×3, first 2 shown]
	s_waitcnt vmcnt(4)
	v_mul_f64 v[10:11], v[8:9], v[22:23]
	v_fma_f64 v[10:11], v[6:7], v[20:21], v[10:11]
	v_mul_f64 v[6:7], v[6:7], v[22:23]
	v_fma_f64 v[12:13], v[8:9], v[20:21], -v[6:7]
	v_mov_b32_e32 v6, s5
	v_addc_co_u32_e32 v17, vcc, v17, v6, vcc
	s_mov_b32 s4, 0x134454ff
	s_mov_b32 s5, 0x3fee6f0e
	;; [unrolled: 1-line block ×3, first 2 shown]
	ds_write_b128 v116, v[10:13] offset:46000
	global_load_dwordx4 v[6:9], v[16:17], off
	global_load_dwordx4 v[20:23], v[14:15], off offset:3904
	v_add_co_u32_e32 v14, vcc, s3, v16
	s_waitcnt vmcnt(0)
	buffer_store_dword v20, off, s[24:27], 0 ; 4-byte Folded Spill
	s_nop 0
	buffer_store_dword v21, off, s[24:27], 0 offset:4 ; 4-byte Folded Spill
	buffer_store_dword v22, off, s[24:27], 0 offset:8 ; 4-byte Folded Spill
	;; [unrolled: 1-line block ×3, first 2 shown]
	v_mul_f64 v[10:11], v[8:9], v[22:23]
	v_fma_f64 v[10:11], v[6:7], v[20:21], v[10:11]
	v_mul_f64 v[6:7], v[6:7], v[22:23]
	v_fma_f64 v[12:13], v[8:9], v[20:21], -v[6:7]
	v_mov_b32_e32 v6, s2
	v_addc_co_u32_e32 v15, vcc, v17, v6, vcc
	ds_write_b128 v116, v[10:13] offset:8000
	global_load_dwordx4 v[6:9], v[14:15], off
	global_load_dwordx4 v[20:23], v[0:1], off offset:1616
	s_waitcnt vmcnt(0)
	buffer_store_dword v20, off, s[24:27], 0 offset:72 ; 4-byte Folded Spill
	s_nop 0
	buffer_store_dword v21, off, s[24:27], 0 offset:76 ; 4-byte Folded Spill
	buffer_store_dword v22, off, s[24:27], 0 offset:80 ; 4-byte Folded Spill
	;; [unrolled: 1-line block ×3, first 2 shown]
	v_mul_f64 v[0:1], v[8:9], v[22:23]
	v_fma_f64 v[10:11], v[6:7], v[20:21], v[0:1]
	v_mul_f64 v[0:1], v[6:7], v[22:23]
	v_fma_f64 v[12:13], v[8:9], v[20:21], -v[0:1]
	v_add_co_u32_e32 v0, vcc, s3, v14
	v_mov_b32_e32 v1, s2
	v_addc_co_u32_e32 v1, vcc, v15, v1, vcc
	ds_write_b128 v116, v[10:13] offset:18000
	global_load_dwordx4 v[6:9], v[0:1], off
	global_load_dwordx4 v[12:15], v[18:19], off offset:3424
	s_waitcnt vmcnt(0)
	buffer_store_dword v12, off, s[24:27], 0 offset:16 ; 4-byte Folded Spill
	s_nop 0
	buffer_store_dword v13, off, s[24:27], 0 offset:20 ; 4-byte Folded Spill
	buffer_store_dword v14, off, s[24:27], 0 offset:24 ; 4-byte Folded Spill
	;; [unrolled: 1-line block ×3, first 2 shown]
	v_mul_f64 v[10:11], v[8:9], v[14:15]
	v_fma_f64 v[10:11], v[6:7], v[12:13], v[10:11]
	v_mul_f64 v[6:7], v[6:7], v[14:15]
	v_fma_f64 v[12:13], v[8:9], v[12:13], -v[6:7]
	ds_write_b128 v116, v[10:13] offset:28000
	v_add_co_u32_e32 v10, vcc, s3, v0
	v_mov_b32_e32 v0, s2
	v_addc_co_u32_e32 v11, vcc, v1, v0, vcc
	global_load_dwordx4 v[6:9], v[10:11], off
	global_load_dwordx4 v[12:15], v[2:3], off offset:1136
	s_waitcnt vmcnt(0)
	buffer_store_dword v12, off, s[24:27], 0 offset:32 ; 4-byte Folded Spill
	s_nop 0
	buffer_store_dword v13, off, s[24:27], 0 offset:36 ; 4-byte Folded Spill
	buffer_store_dword v14, off, s[24:27], 0 offset:40 ; 4-byte Folded Spill
	;; [unrolled: 1-line block ×3, first 2 shown]
	v_mul_f64 v[0:1], v[8:9], v[14:15]
	v_mul_f64 v[2:3], v[6:7], v[14:15]
	v_fma_f64 v[0:1], v[6:7], v[12:13], v[0:1]
	v_fma_f64 v[2:3], v[8:9], v[12:13], -v[2:3]
	v_add_co_u32_e32 v6, vcc, s3, v10
	ds_write_b128 v116, v[0:3] offset:38000
	v_mov_b32_e32 v0, s2
	v_addc_co_u32_e32 v7, vcc, v11, v0, vcc
	global_load_dwordx4 v[0:3], v[6:7], off
	global_load_dwordx4 v[8:11], v[4:5], off offset:2944
                                        ; kill: killed $vgpr6 killed $vgpr7
	s_mov_b32 s2, 0x372fe950
	s_mov_b32 s3, 0x3fd3c6ef
	s_waitcnt vmcnt(0)
	v_mul_f64 v[4:5], v[2:3], v[10:11]
	v_fma_f64 v[4:5], v[0:1], v[8:9], v[4:5]
	v_mul_f64 v[0:1], v[0:1], v[10:11]
	buffer_store_dword v8, off, s[24:27], 0 offset:56 ; 4-byte Folded Spill
	s_nop 0
	buffer_store_dword v9, off, s[24:27], 0 offset:60 ; 4-byte Folded Spill
	buffer_store_dword v10, off, s[24:27], 0 offset:64 ; 4-byte Folded Spill
	;; [unrolled: 1-line block ×3, first 2 shown]
	v_fma_f64 v[6:7], v[2:3], v[8:9], -v[0:1]
	ds_write_b128 v116, v[4:7] offset:48000
	s_waitcnt vmcnt(0) lgkmcnt(0)
	s_barrier
	ds_read_b128 v[32:35], v116
	ds_read_b128 v[60:63], v116 offset:10000
	ds_read_b128 v[64:67], v116 offset:20000
	;; [unrolled: 1-line block ×24, first 2 shown]
	s_waitcnt lgkmcnt(14)
	v_add_f64 v[22:23], v[64:65], v[68:69]
	v_add_f64 v[26:27], v[62:63], -v[78:79]
	v_add_f64 v[30:31], v[66:67], -v[70:71]
	;; [unrolled: 1-line block ×4, first 2 shown]
	v_add_f64 v[20:21], v[32:33], v[60:61]
	v_add_f64 v[38:39], v[68:69], -v[76:77]
	s_waitcnt lgkmcnt(0)
	v_fma_f64 v[22:23], v[22:23], -0.5, v[32:33]
	s_barrier
	v_add_f64 v[36:37], v[28:29], v[36:37]
	v_add_f64 v[20:21], v[20:21], v[64:65]
	v_fma_f64 v[24:25], v[26:27], s[4:5], v[22:23]
	v_fma_f64 v[22:23], v[26:27], s[14:15], v[22:23]
	v_add_f64 v[20:21], v[20:21], v[68:69]
	v_fma_f64 v[24:25], v[30:31], s[8:9], v[24:25]
	v_fma_f64 v[22:23], v[30:31], s[6:7], v[22:23]
	;; [unrolled: 3-line block ×3, first 2 shown]
	v_add_f64 v[22:23], v[60:61], v[76:77]
	v_add_f64 v[36:37], v[64:65], -v[60:61]
	v_add_f64 v[60:61], v[60:61], -v[76:77]
	;; [unrolled: 1-line block ×5, first 2 shown]
	v_fma_f64 v[22:23], v[22:23], -0.5, v[32:33]
	v_add_f64 v[38:39], v[36:37], v[38:39]
	v_fma_f64 v[32:33], v[30:31], s[14:15], v[22:23]
	v_fma_f64 v[22:23], v[30:31], s[4:5], v[22:23]
	;; [unrolled: 1-line block ×4, first 2 shown]
	v_add_f64 v[26:27], v[66:67], v[70:71]
	v_fma_f64 v[36:37], v[38:39], s[2:3], v[32:33]
	v_fma_f64 v[32:33], v[38:39], s[2:3], v[22:23]
	v_fma_f64 v[26:27], v[26:27], -0.5, v[34:35]
	v_add_f64 v[38:39], v[62:63], -v[66:67]
	v_add_f64 v[22:23], v[34:35], v[62:63]
	v_fma_f64 v[30:31], v[60:61], s[14:15], v[26:27]
	v_fma_f64 v[26:27], v[60:61], s[4:5], v[26:27]
	v_add_f64 v[38:39], v[38:39], v[68:69]
	v_add_f64 v[22:23], v[22:23], v[66:67]
	v_add_f64 v[68:69], v[100:101], -v[104:105]
	v_fma_f64 v[30:31], v[64:65], s[6:7], v[30:31]
	v_fma_f64 v[26:27], v[64:65], s[8:9], v[26:27]
	v_add_f64 v[22:23], v[22:23], v[70:71]
	v_add_f64 v[76:77], v[68:69], v[76:77]
	v_fma_f64 v[30:31], v[38:39], s[2:3], v[30:31]
	v_fma_f64 v[26:27], v[38:39], s[2:3], v[26:27]
	v_add_f64 v[38:39], v[62:63], v[78:79]
	v_add_f64 v[62:63], v[66:67], -v[62:63]
	v_add_f64 v[66:67], v[70:71], -v[78:79]
	;; [unrolled: 1-line block ×3, first 2 shown]
	v_add_f64 v[22:23], v[22:23], v[78:79]
	v_add_f64 v[78:79], v[108:109], -v[112:113]
	v_fma_f64 v[34:35], v[38:39], -0.5, v[34:35]
	v_add_f64 v[62:63], v[62:63], v[66:67]
	v_add_f64 v[66:67], v[102:103], -v[114:115]
	v_fma_f64 v[38:39], v[64:65], s[4:5], v[34:35]
	v_fma_f64 v[34:35], v[64:65], s[14:15], v[34:35]
	;; [unrolled: 1-line block ×4, first 2 shown]
	v_add_f64 v[60:61], v[72:73], v[100:101]
	v_fma_f64 v[38:39], v[62:63], s[2:3], v[38:39]
	v_fma_f64 v[34:35], v[62:63], s[2:3], v[34:35]
	v_add_f64 v[62:63], v[104:105], v[108:109]
	v_add_f64 v[60:61], v[60:61], v[104:105]
	v_fma_f64 v[62:63], v[62:63], -0.5, v[72:73]
	v_add_f64 v[60:61], v[60:61], v[108:109]
	v_fma_f64 v[64:65], v[66:67], s[4:5], v[62:63]
	v_fma_f64 v[62:63], v[66:67], s[14:15], v[62:63]
	v_add_f64 v[60:61], v[60:61], v[112:113]
	v_fma_f64 v[64:65], v[70:71], s[8:9], v[64:65]
	v_fma_f64 v[62:63], v[70:71], s[6:7], v[62:63]
	;; [unrolled: 1-line block ×4, first 2 shown]
	v_add_f64 v[62:63], v[100:101], v[112:113]
	v_add_f64 v[76:77], v[104:105], -v[100:101]
	v_fma_f64 v[62:63], v[62:63], -0.5, v[72:73]
	v_add_f64 v[76:77], v[76:77], v[78:79]
	v_add_f64 v[78:79], v[100:101], -v[112:113]
	v_add_f64 v[100:101], v[104:105], -v[108:109]
	v_add_f64 v[104:105], v[102:103], -v[106:107]
	v_add_f64 v[108:109], v[114:115], -v[110:111]
	v_add_f64 v[112:113], v[96:97], -v[92:93]
	v_fma_f64 v[72:73], v[70:71], s[14:15], v[62:63]
	v_fma_f64 v[62:63], v[70:71], s[4:5], v[62:63]
	v_add_f64 v[104:105], v[104:105], v[108:109]
	v_add_f64 v[108:109], v[84:85], -v[88:89]
	v_fma_f64 v[72:73], v[66:67], s[8:9], v[72:73]
	v_fma_f64 v[62:63], v[66:67], s[6:7], v[62:63]
	v_add_f64 v[66:67], v[106:107], v[110:111]
	v_add_f64 v[112:113], v[108:109], v[112:113]
	v_fma_f64 v[72:73], v[76:77], s[2:3], v[72:73]
	v_fma_f64 v[76:77], v[76:77], s[2:3], v[62:63]
	v_fma_f64 v[66:67], v[66:67], -0.5, v[74:75]
	v_add_f64 v[62:63], v[74:75], v[102:103]
	v_fma_f64 v[70:71], v[78:79], s[14:15], v[66:67]
	v_fma_f64 v[66:67], v[78:79], s[4:5], v[66:67]
	v_add_f64 v[62:63], v[62:63], v[106:107]
	v_fma_f64 v[70:71], v[100:101], s[6:7], v[70:71]
	v_fma_f64 v[66:67], v[100:101], s[8:9], v[66:67]
	;; [unrolled: 3-line block ×3, first 2 shown]
	v_add_f64 v[104:105], v[102:103], v[114:115]
	v_add_f64 v[102:103], v[106:107], -v[102:103]
	v_add_f64 v[106:107], v[110:111], -v[114:115]
	;; [unrolled: 1-line block ×3, first 2 shown]
	v_add_f64 v[62:63], v[62:63], v[114:115]
	v_add_f64 v[114:115], v[92:93], -v[96:97]
	v_fma_f64 v[104:105], v[104:105], -0.5, v[74:75]
	v_add_f64 v[102:103], v[102:103], v[106:107]
	v_add_f64 v[106:107], v[86:87], -v[98:99]
	v_fma_f64 v[74:75], v[100:101], s[4:5], v[104:105]
	v_fma_f64 v[100:101], v[100:101], s[14:15], v[104:105]
	;; [unrolled: 1-line block ×4, first 2 shown]
	v_add_f64 v[100:101], v[80:81], v[84:85]
	v_fma_f64 v[74:75], v[102:103], s[2:3], v[74:75]
	v_fma_f64 v[78:79], v[102:103], s[2:3], v[78:79]
	v_add_f64 v[102:103], v[88:89], v[92:93]
	v_add_f64 v[100:101], v[100:101], v[88:89]
	v_fma_f64 v[102:103], v[102:103], -0.5, v[80:81]
	v_add_f64 v[100:101], v[100:101], v[92:93]
	v_fma_f64 v[104:105], v[106:107], s[4:5], v[102:103]
	v_fma_f64 v[102:103], v[106:107], s[14:15], v[102:103]
	v_add_f64 v[100:101], v[100:101], v[96:97]
	v_fma_f64 v[104:105], v[110:111], s[8:9], v[104:105]
	v_fma_f64 v[102:103], v[110:111], s[6:7], v[102:103]
	v_fma_f64 v[108:109], v[112:113], s[2:3], v[104:105]
	v_fma_f64 v[104:105], v[112:113], s[2:3], v[102:103]
	v_add_f64 v[102:103], v[84:85], v[96:97]
	v_add_f64 v[112:113], v[88:89], -v[84:85]
	v_add_f64 v[84:85], v[84:85], -v[96:97]
	;; [unrolled: 1-line block ×3, first 2 shown]
	v_fma_f64 v[80:81], v[102:103], -0.5, v[80:81]
	v_add_f64 v[114:115], v[112:113], v[114:115]
	v_fma_f64 v[102:103], v[110:111], s[14:15], v[80:81]
	v_fma_f64 v[80:81], v[110:111], s[4:5], v[80:81]
	v_add_f64 v[110:111], v[98:99], -v[94:95]
	v_fma_f64 v[102:103], v[106:107], s[8:9], v[102:103]
	v_fma_f64 v[80:81], v[106:107], s[6:7], v[80:81]
	v_add_f64 v[106:107], v[90:91], v[94:95]
	v_fma_f64 v[112:113], v[114:115], s[2:3], v[102:103]
	v_add_f64 v[102:103], v[82:83], v[86:87]
	v_fma_f64 v[106:107], v[106:107], -0.5, v[82:83]
	v_fma_f64 v[80:81], v[114:115], s[2:3], v[80:81]
	v_add_f64 v[102:103], v[102:103], v[90:91]
	v_fma_f64 v[96:97], v[84:85], s[14:15], v[106:107]
	v_add_f64 v[102:103], v[102:103], v[94:95]
	v_fma_f64 v[92:93], v[88:89], s[6:7], v[96:97]
	v_add_f64 v[96:97], v[86:87], -v[90:91]
	v_add_f64 v[102:103], v[102:103], v[98:99]
	v_add_f64 v[96:97], v[96:97], v[110:111]
	v_fma_f64 v[110:111], v[96:97], s[2:3], v[92:93]
	v_fma_f64 v[92:93], v[84:85], s[4:5], v[106:107]
	;; [unrolled: 1-line block ×4, first 2 shown]
	v_add_f64 v[92:93], v[86:87], v[98:99]
	v_add_f64 v[86:87], v[90:91], -v[86:87]
	v_add_f64 v[90:91], v[94:95], -v[98:99]
	;; [unrolled: 1-line block ×5, first 2 shown]
	v_fma_f64 v[82:83], v[92:93], -0.5, v[82:83]
	v_add_f64 v[86:87], v[86:87], v[90:91]
	v_add_f64 v[90:91], v[42:43], -v[58:59]
	v_fma_f64 v[92:93], v[88:89], s[4:5], v[82:83]
	v_fma_f64 v[82:83], v[88:89], s[14:15], v[82:83]
	v_fma_f64 v[92:93], v[84:85], s[6:7], v[92:93]
	v_fma_f64 v[82:83], v[84:85], s[8:9], v[82:83]
	v_add_f64 v[84:85], v[52:53], v[40:41]
	v_fma_f64 v[114:115], v[86:87], s[2:3], v[92:93]
	v_fma_f64 v[82:83], v[86:87], s[2:3], v[82:83]
	v_add_f64 v[86:87], v[44:45], v[48:49]
	v_add_f64 v[92:93], v[40:41], -v[44:45]
	v_add_f64 v[84:85], v[84:85], v[44:45]
	v_fma_f64 v[86:87], v[86:87], -0.5, v[52:53]
	v_add_f64 v[96:97], v[92:93], v[96:97]
	v_add_f64 v[84:85], v[84:85], v[48:49]
	v_fma_f64 v[88:89], v[90:91], s[4:5], v[86:87]
	v_fma_f64 v[86:87], v[90:91], s[14:15], v[86:87]
	v_add_f64 v[84:85], v[84:85], v[56:57]
	v_fma_f64 v[88:89], v[94:95], s[8:9], v[88:89]
	v_fma_f64 v[86:87], v[94:95], s[6:7], v[86:87]
	;; [unrolled: 1-line block ×4, first 2 shown]
	v_add_f64 v[86:87], v[40:41], v[56:57]
	v_add_f64 v[96:97], v[44:45], -v[40:41]
	v_add_f64 v[40:41], v[40:41], -v[56:57]
	;; [unrolled: 1-line block ×3, first 2 shown]
	v_fma_f64 v[52:53], v[86:87], -0.5, v[52:53]
	v_add_f64 v[98:99], v[96:97], v[98:99]
	v_fma_f64 v[86:87], v[94:95], s[14:15], v[52:53]
	v_fma_f64 v[52:53], v[94:95], s[4:5], v[52:53]
	v_add_f64 v[94:95], v[58:59], -v[50:51]
	v_fma_f64 v[86:87], v[90:91], s[8:9], v[86:87]
	v_fma_f64 v[52:53], v[90:91], s[6:7], v[52:53]
	v_add_f64 v[90:91], v[46:47], v[50:51]
	v_fma_f64 v[96:97], v[98:99], s[2:3], v[86:87]
	v_add_f64 v[86:87], v[54:55], v[42:43]
	v_fma_f64 v[90:91], v[90:91], -0.5, v[54:55]
	v_fma_f64 v[52:53], v[98:99], s[2:3], v[52:53]
	v_add_f64 v[86:87], v[86:87], v[46:47]
	v_fma_f64 v[56:57], v[40:41], s[14:15], v[90:91]
	v_add_f64 v[86:87], v[86:87], v[50:51]
	v_fma_f64 v[48:49], v[44:45], s[6:7], v[56:57]
	v_add_f64 v[56:57], v[42:43], -v[46:47]
	v_add_f64 v[86:87], v[86:87], v[58:59]
	v_add_f64 v[56:57], v[56:57], v[94:95]
	v_fma_f64 v[94:95], v[56:57], s[2:3], v[48:49]
	v_fma_f64 v[48:49], v[40:41], s[4:5], v[90:91]
	;; [unrolled: 1-line block ×4, first 2 shown]
	v_add_f64 v[48:49], v[42:43], v[58:59]
	v_add_f64 v[42:43], v[46:47], -v[42:43]
	v_add_f64 v[46:47], v[50:51], -v[58:59]
	;; [unrolled: 1-line block ×5, first 2 shown]
	v_fma_f64 v[48:49], v[48:49], -0.5, v[54:55]
	v_add_f64 v[42:43], v[42:43], v[46:47]
	v_add_f64 v[46:47], v[2:3], -v[14:15]
	v_fma_f64 v[54:55], v[44:45], s[4:5], v[48:49]
	v_fma_f64 v[44:45], v[44:45], s[14:15], v[48:49]
	v_add_f64 v[48:49], v[0:1], -v[4:5]
	v_fma_f64 v[54:55], v[40:41], s[6:7], v[54:55]
	v_fma_f64 v[40:41], v[40:41], s[8:9], v[44:45]
	v_add_f64 v[48:49], v[48:49], v[56:57]
	v_add_f64 v[56:57], v[4:5], -v[0:1]
	v_fma_f64 v[98:99], v[42:43], s[2:3], v[54:55]
	v_fma_f64 v[54:55], v[42:43], s[2:3], v[40:41]
	v_add_f64 v[42:43], v[4:5], v[8:9]
	v_add_f64 v[40:41], v[16:17], v[0:1]
	;; [unrolled: 1-line block ×3, first 2 shown]
	v_fma_f64 v[42:43], v[42:43], -0.5, v[16:17]
	v_add_f64 v[40:41], v[40:41], v[4:5]
	v_add_f64 v[4:5], v[4:5], -v[8:9]
	v_fma_f64 v[44:45], v[46:47], s[4:5], v[42:43]
	v_fma_f64 v[42:43], v[46:47], s[14:15], v[42:43]
	v_add_f64 v[40:41], v[40:41], v[8:9]
	v_fma_f64 v[44:45], v[50:51], s[8:9], v[44:45]
	v_fma_f64 v[42:43], v[50:51], s[6:7], v[42:43]
	v_add_f64 v[40:41], v[40:41], v[12:13]
	;; [unrolled: 3-line block ×3, first 2 shown]
	v_add_f64 v[0:1], v[0:1], -v[12:13]
	v_fma_f64 v[42:43], v[42:43], -0.5, v[16:17]
	v_fma_f64 v[16:17], v[50:51], s[14:15], v[42:43]
	v_fma_f64 v[42:43], v[50:51], s[4:5], v[42:43]
	;; [unrolled: 1-line block ×4, first 2 shown]
	v_add_f64 v[46:47], v[6:7], v[10:11]
	v_fma_f64 v[16:17], v[56:57], s[2:3], v[16:17]
	v_fma_f64 v[56:57], v[56:57], s[2:3], v[42:43]
	v_fma_f64 v[50:51], v[46:47], -0.5, v[18:19]
	v_add_f64 v[46:47], v[14:15], -v[10:11]
	v_add_f64 v[42:43], v[18:19], v[2:3]
	v_fma_f64 v[12:13], v[0:1], s[14:15], v[50:51]
	v_add_f64 v[42:43], v[42:43], v[6:7]
	v_fma_f64 v[8:9], v[4:5], s[6:7], v[12:13]
	v_add_f64 v[12:13], v[2:3], -v[6:7]
	v_add_f64 v[42:43], v[42:43], v[10:11]
	v_add_f64 v[12:13], v[12:13], v[46:47]
	;; [unrolled: 1-line block ×3, first 2 shown]
	v_fma_f64 v[46:47], v[12:13], s[2:3], v[8:9]
	v_fma_f64 v[8:9], v[0:1], s[4:5], v[50:51]
	;; [unrolled: 1-line block ×4, first 2 shown]
	v_add_f64 v[8:9], v[2:3], v[14:15]
	v_add_f64 v[2:3], v[6:7], -v[2:3]
	v_add_f64 v[6:7], v[10:11], -v[14:15]
	v_fma_f64 v[8:9], v[8:9], -0.5, v[18:19]
	v_add_f64 v[2:3], v[2:3], v[6:7]
	v_fma_f64 v[12:13], v[4:5], s[4:5], v[8:9]
	v_fma_f64 v[4:5], v[4:5], s[14:15], v[8:9]
	;; [unrolled: 1-line block ×6, first 2 shown]
	v_mul_lo_u16_e32 v0, 5, v158
	v_lshlrev_b32_e32 v0, 4, v0
	buffer_store_dword v0, off, s[24:27], 0 offset:688 ; 4-byte Folded Spill
	ds_write_b128 v0, v[20:23]
	ds_write_b128 v0, v[28:31] offset:16
	ds_write_b128 v0, v[36:39] offset:32
	;; [unrolled: 1-line block ×4, first 2 shown]
	v_mul_u32_u24_e32 v0, 5, v152
	v_lshlrev_b32_e32 v0, 4, v0
	buffer_store_dword v0, off, s[24:27], 0 offset:616 ; 4-byte Folded Spill
	ds_write_b128 v0, v[60:63]
	ds_write_b128 v0, v[68:71] offset:16
	ds_write_b128 v0, v[72:75] offset:32
	;; [unrolled: 1-line block ×4, first 2 shown]
	v_mul_u32_u24_e32 v0, 5, v153
	v_lshlrev_b32_e32 v0, 4, v0
	buffer_store_dword v0, off, s[24:27], 0 offset:548 ; 4-byte Folded Spill
	ds_write_b128 v0, v[100:103]
	ds_write_b128 v0, v[108:111] offset:16
	ds_write_b128 v0, v[112:115] offset:32
	;; [unrolled: 1-line block ×4, first 2 shown]
	v_mul_lo_u16_sdwa v100, v158, s18 dst_sel:DWORD dst_unused:UNUSED_PAD src0_sel:BYTE_0 src1_sel:DWORD
	v_lshrrev_b16_e32 v141, 10, v100
	v_mul_u32_u24_e32 v0, 5, v154
	v_mul_lo_u16_e32 v100, 5, v141
	v_lshlrev_b32_e32 v0, 4, v0
	v_sub_u16_e32 v100, v158, v100
	buffer_store_dword v0, off, s[24:27], 0 offset:480 ; 4-byte Folded Spill
	ds_write_b128 v0, v[84:87]
	ds_write_b128 v0, v[92:95] offset:16
	ds_write_b128 v0, v[96:99] offset:32
	;; [unrolled: 1-line block ×4, first 2 shown]
	v_mul_u32_u24_e32 v0, 5, v155
	v_and_b32_e32 v142, 0xff, v100
	v_lshlrev_b32_e32 v0, 4, v0
	v_lshlrev_b32_e32 v100, 6, v142
	buffer_store_dword v0, off, s[24:27], 0 offset:412 ; 4-byte Folded Spill
	ds_write_b128 v0, v[40:43]
	ds_write_b128 v0, v[44:47] offset:16
	ds_write_b128 v0, v[16:19] offset:32
	;; [unrolled: 1-line block ×4, first 2 shown]
	s_waitcnt vmcnt(0) lgkmcnt(0)
	s_barrier
	ds_read_b128 v[28:31], v116
	ds_read_b128 v[60:63], v116 offset:10000
	ds_read_b128 v[64:67], v116 offset:20000
	;; [unrolled: 1-line block ×24, first 2 shown]
	global_load_dwordx4 v[102:105], v100, s[10:11] offset:48
	global_load_dwordx4 v[106:109], v100, s[10:11] offset:32
	;; [unrolled: 1-line block ×3, first 2 shown]
	global_load_dwordx4 v[118:121], v100, s[10:11]
	s_waitcnt vmcnt(0)
	buffer_store_dword v118, off, s[24:27], 0 offset:464 ; 4-byte Folded Spill
	s_nop 0
	buffer_store_dword v119, off, s[24:27], 0 offset:468 ; 4-byte Folded Spill
	buffer_store_dword v120, off, s[24:27], 0 offset:472 ; 4-byte Folded Spill
	buffer_store_dword v121, off, s[24:27], 0 offset:476 ; 4-byte Folded Spill
	buffer_store_dword v110, off, s[24:27], 0 offset:448 ; 4-byte Folded Spill
	s_nop 0
	buffer_store_dword v111, off, s[24:27], 0 offset:452 ; 4-byte Folded Spill
	buffer_store_dword v112, off, s[24:27], 0 offset:456 ; 4-byte Folded Spill
	buffer_store_dword v113, off, s[24:27], 0 offset:460 ; 4-byte Folded Spill
	;; [unrolled: 5-line block ×4, first 2 shown]
	s_waitcnt lgkmcnt(14)
	v_mul_f64 v[100:101], v[62:63], v[120:121]
	v_fma_f64 v[130:131], v[60:61], v[118:119], -v[100:101]
	v_mul_f64 v[60:61], v[60:61], v[120:121]
	v_fma_f64 v[114:115], v[62:63], v[118:119], v[60:61]
	v_mul_f64 v[60:61], v[66:67], v[112:113]
	v_fma_f64 v[132:133], v[64:65], v[110:111], -v[60:61]
	v_mul_f64 v[60:61], v[64:65], v[112:113]
	v_fma_f64 v[138:139], v[66:67], v[110:111], v[60:61]
	;; [unrolled: 4-line block ×4, first 2 shown]
	v_mul_lo_u16_sdwa v60, v152, s18 dst_sel:DWORD dst_unused:UNUSED_PAD src0_sel:BYTE_0 src1_sel:DWORD
	v_lshrrev_b16_e32 v143, 10, v60
	v_mul_lo_u16_e32 v60, 5, v143
	v_sub_u16_e32 v60, v152, v60
	v_and_b32_e32 v144, 0xff, v60
	v_lshlrev_b32_e32 v60, 6, v144
	global_load_dwordx4 v[66:69], v60, s[10:11] offset:48
	global_load_dwordx4 v[70:73], v60, s[10:11] offset:32
	;; [unrolled: 1-line block ×3, first 2 shown]
	global_load_dwordx4 v[100:103], v60, s[10:11]
	s_waitcnt vmcnt(0)
	buffer_store_dword v100, off, s[24:27], 0 offset:532 ; 4-byte Folded Spill
	s_nop 0
	buffer_store_dword v101, off, s[24:27], 0 offset:536 ; 4-byte Folded Spill
	buffer_store_dword v102, off, s[24:27], 0 offset:540 ; 4-byte Folded Spill
	;; [unrolled: 1-line block ×3, first 2 shown]
	s_mov_b32 s18, 0xcccd
	v_mul_f64 v[60:61], v[78:79], v[102:103]
	v_fma_f64 v[122:123], v[76:77], v[100:101], -v[60:61]
	v_mul_f64 v[60:61], v[76:77], v[102:103]
	v_mov_b32_e32 v77, v65
	v_mov_b32_e32 v76, v64
	;; [unrolled: 1-line block ×4, first 2 shown]
	buffer_store_dword v74, off, s[24:27], 0 offset:516 ; 4-byte Folded Spill
	s_nop 0
	buffer_store_dword v75, off, s[24:27], 0 offset:520 ; 4-byte Folded Spill
	buffer_store_dword v76, off, s[24:27], 0 offset:524 ; 4-byte Folded Spill
	;; [unrolled: 1-line block ×4, first 2 shown]
	s_nop 0
	buffer_store_dword v71, off, s[24:27], 0 offset:504 ; 4-byte Folded Spill
	buffer_store_dword v72, off, s[24:27], 0 offset:508 ; 4-byte Folded Spill
	;; [unrolled: 1-line block ×3, first 2 shown]
	v_fma_f64 v[60:61], v[78:79], v[100:101], v[60:61]
	v_mul_f64 v[62:63], v[82:83], v[76:77]
	v_mul_f64 v[64:65], v[86:87], v[72:73]
	v_fma_f64 v[124:125], v[80:81], v[74:75], -v[62:63]
	v_fma_f64 v[126:127], v[84:85], v[70:71], -v[64:65]
	v_mul_f64 v[64:65], v[84:85], v[72:73]
	v_mul_f64 v[62:63], v[80:81], v[76:77]
	v_fma_f64 v[64:65], v[86:87], v[70:71], v[64:65]
	v_mov_b32_e32 v71, v69
	v_mov_b32_e32 v70, v68
	;; [unrolled: 1-line block ×4, first 2 shown]
	buffer_store_dword v68, off, s[24:27], 0 offset:484 ; 4-byte Folded Spill
	s_nop 0
	buffer_store_dword v69, off, s[24:27], 0 offset:488 ; 4-byte Folded Spill
	buffer_store_dword v70, off, s[24:27], 0 offset:492 ; 4-byte Folded Spill
	;; [unrolled: 1-line block ×3, first 2 shown]
	v_fma_f64 v[62:63], v[82:83], v[74:75], v[62:63]
	v_mul_f64 v[66:67], v[90:91], v[70:71]
	v_fma_f64 v[128:129], v[88:89], v[68:69], -v[66:67]
	v_mul_f64 v[66:67], v[88:89], v[70:71]
	v_fma_f64 v[74:75], v[90:91], v[68:69], v[66:67]
	v_mul_u32_u24_sdwa v66, v153, s18 dst_sel:DWORD dst_unused:UNUSED_PAD src0_sel:WORD_0 src1_sel:DWORD
	v_lshrrev_b32_e32 v145, 18, v66
	v_mul_lo_u16_e32 v66, 5, v145
	v_sub_u16_e32 v146, v153, v66
	v_lshlrev_b16_e32 v66, 2, v146
	v_lshlrev_b32_e32 v66, 4, v66
	global_load_dwordx4 v[82:85], v66, s[10:11] offset:48
	global_load_dwordx4 v[70:73], v66, s[10:11] offset:32
	;; [unrolled: 1-line block ×3, first 2 shown]
	global_load_dwordx4 v[86:89], v66, s[10:11]
	s_waitcnt vmcnt(0)
	buffer_store_dword v86, off, s[24:27], 0 offset:600 ; 4-byte Folded Spill
	s_nop 0
	buffer_store_dword v87, off, s[24:27], 0 offset:604 ; 4-byte Folded Spill
	buffer_store_dword v88, off, s[24:27], 0 offset:608 ; 4-byte Folded Spill
	;; [unrolled: 1-line block ×3, first 2 shown]
	s_waitcnt lgkmcnt(13)
	v_mul_f64 v[66:67], v[94:95], v[88:89]
	v_fma_f64 v[76:77], v[92:93], v[86:87], -v[66:67]
	v_mul_f64 v[66:67], v[92:93], v[88:89]
	v_fma_f64 v[66:67], v[94:95], v[86:87], v[66:67]
	v_mov_b32_e32 v89, v81
	v_mov_b32_e32 v88, v80
	;; [unrolled: 1-line block ×4, first 2 shown]
	buffer_store_dword v86, off, s[24:27], 0 offset:584 ; 4-byte Folded Spill
	s_nop 0
	buffer_store_dword v87, off, s[24:27], 0 offset:588 ; 4-byte Folded Spill
	buffer_store_dword v88, off, s[24:27], 0 offset:592 ; 4-byte Folded Spill
	;; [unrolled: 1-line block ×3, first 2 shown]
	s_waitcnt lgkmcnt(12)
	v_mul_f64 v[68:69], v[98:99], v[88:89]
	v_fma_f64 v[78:79], v[96:97], v[86:87], -v[68:69]
	v_mul_f64 v[68:69], v[96:97], v[88:89]
	v_fma_f64 v[68:69], v[98:99], v[86:87], v[68:69]
	v_mov_b32_e32 v89, v73
	v_mov_b32_e32 v88, v72
	;; [unrolled: 1-line block ×4, first 2 shown]
	buffer_store_dword v86, off, s[24:27], 0 offset:568 ; 4-byte Folded Spill
	s_nop 0
	buffer_store_dword v87, off, s[24:27], 0 offset:572 ; 4-byte Folded Spill
	buffer_store_dword v88, off, s[24:27], 0 offset:576 ; 4-byte Folded Spill
	buffer_store_dword v89, off, s[24:27], 0 offset:580 ; 4-byte Folded Spill
	buffer_store_dword v82, off, s[24:27], 0 offset:552 ; 4-byte Folded Spill
	s_nop 0
	buffer_store_dword v83, off, s[24:27], 0 offset:556 ; 4-byte Folded Spill
	buffer_store_dword v84, off, s[24:27], 0 offset:560 ; 4-byte Folded Spill
	;; [unrolled: 1-line block ×3, first 2 shown]
	s_waitcnt lgkmcnt(11)
	v_mul_f64 v[70:71], v[58:59], v[88:89]
	v_fma_f64 v[80:81], v[56:57], v[86:87], -v[70:71]
	v_mul_f64 v[56:57], v[56:57], v[88:89]
	v_fma_f64 v[70:71], v[58:59], v[86:87], v[56:57]
	s_waitcnt lgkmcnt(10)
	v_mul_f64 v[56:57], v[54:55], v[84:85]
	v_fma_f64 v[58:59], v[52:53], v[82:83], -v[56:57]
	v_mul_f64 v[52:53], v[52:53], v[84:85]
	v_fma_f64 v[72:73], v[54:55], v[82:83], v[52:53]
	v_mul_u32_u24_sdwa v52, v154, s18 dst_sel:DWORD dst_unused:UNUSED_PAD src0_sel:WORD_0 src1_sel:DWORD
	v_lshrrev_b32_e32 v147, 18, v52
	v_mul_lo_u16_e32 v52, 5, v147
	v_sub_u16_e32 v148, v154, v52
	v_lshlrev_b16_e32 v52, 2, v148
	v_lshlrev_b32_e32 v52, 4, v52
	global_load_dwordx4 v[54:57], v52, s[10:11] offset:48
	global_load_dwordx4 v[84:87], v52, s[10:11] offset:32
	;; [unrolled: 1-line block ×3, first 2 shown]
	global_load_dwordx4 v[92:95], v52, s[10:11]
	s_waitcnt vmcnt(0) lgkmcnt(8)
	v_mul_f64 v[52:53], v[50:51], v[94:95]
	v_fma_f64 v[106:107], v[48:49], v[92:93], -v[52:53]
	buffer_store_dword v92, off, s[24:27], 0 offset:824 ; 4-byte Folded Spill
	s_nop 0
	buffer_store_dword v93, off, s[24:27], 0 offset:828 ; 4-byte Folded Spill
	buffer_store_dword v94, off, s[24:27], 0 offset:832 ; 4-byte Folded Spill
	buffer_store_dword v95, off, s[24:27], 0 offset:836 ; 4-byte Folded Spill
	buffer_store_dword v88, off, s[24:27], 0 offset:840 ; 4-byte Folded Spill
	s_nop 0
	buffer_store_dword v89, off, s[24:27], 0 offset:844 ; 4-byte Folded Spill
	buffer_store_dword v90, off, s[24:27], 0 offset:848 ; 4-byte Folded Spill
	buffer_store_dword v91, off, s[24:27], 0 offset:852 ; 4-byte Folded Spill
	buffer_store_dword v84, off, s[24:27], 0 offset:856 ; 4-byte Folded Spill
	s_nop 0
	buffer_store_dword v85, off, s[24:27], 0 offset:860 ; 4-byte Folded Spill
	buffer_store_dword v86, off, s[24:27], 0 offset:864 ; 4-byte Folded Spill
	buffer_store_dword v87, off, s[24:27], 0 offset:868 ; 4-byte Folded Spill
	buffer_store_dword v54, off, s[24:27], 0 offset:872 ; 4-byte Folded Spill
	s_nop 0
	buffer_store_dword v55, off, s[24:27], 0 offset:876 ; 4-byte Folded Spill
	buffer_store_dword v56, off, s[24:27], 0 offset:880 ; 4-byte Folded Spill
	buffer_store_dword v57, off, s[24:27], 0 offset:884 ; 4-byte Folded Spill
	v_add_f64 v[52:53], v[122:123], -v[128:129]
	v_mul_f64 v[48:49], v[48:49], v[94:95]
	v_fma_f64 v[82:83], v[50:51], v[92:93], v[48:49]
	s_waitcnt lgkmcnt(7)
	v_mul_f64 v[48:49], v[46:47], v[90:91]
	v_add_f64 v[50:51], v[126:127], -v[128:129]
	v_fma_f64 v[108:109], v[44:45], v[88:89], -v[48:49]
	v_mul_f64 v[44:45], v[44:45], v[90:91]
	v_add_f64 v[48:49], v[128:129], -v[126:127]
	v_fma_f64 v[100:101], v[46:47], v[88:89], v[44:45]
	s_waitcnt lgkmcnt(6)
	v_mul_f64 v[44:45], v[42:43], v[86:87]
	v_add_f64 v[46:47], v[62:63], -v[64:65]
	v_fma_f64 v[110:111], v[40:41], v[84:85], -v[44:45]
	v_mul_f64 v[40:41], v[40:41], v[86:87]
	v_add_f64 v[44:45], v[122:123], -v[124:125]
	v_fma_f64 v[102:103], v[42:43], v[84:85], v[40:41]
	s_waitcnt lgkmcnt(5)
	v_mul_f64 v[40:41], v[38:39], v[56:57]
	v_add_f64 v[42:43], v[118:119], -v[120:121]
	v_add_f64 v[48:49], v[44:45], v[48:49]
	v_fma_f64 v[112:113], v[36:37], v[54:55], -v[40:41]
	v_mul_f64 v[36:37], v[36:37], v[56:57]
	v_add_f64 v[40:41], v[120:121], -v[118:119]
	v_add_f64 v[56:57], v[74:75], -v[64:65]
	v_fma_f64 v[104:105], v[38:39], v[54:55], v[36:37]
	v_mul_u32_u24_sdwa v36, v155, s18 dst_sel:DWORD dst_unused:UNUSED_PAD src0_sel:WORD_0 src1_sel:DWORD
	v_lshrrev_b32_e32 v156, 18, v36
	v_mul_lo_u16_e32 v36, 5, v156
	v_sub_u16_e32 v157, v155, v36
	v_lshlrev_b16_e32 v36, 2, v157
	v_lshlrev_b32_e32 v36, 4, v36
	global_load_dwordx4 v[252:255], v36, s[10:11] offset:48
	global_load_dwordx4 v[220:223], v36, s[10:11] offset:32
	;; [unrolled: 1-line block ×3, first 2 shown]
	global_load_dwordx4 v[184:187], v36, s[10:11]
	v_add_f64 v[38:39], v[132:133], -v[134:135]
	v_add_f64 v[54:55], v[124:125], -v[126:127]
	s_waitcnt vmcnt(0) lgkmcnt(0)
	s_barrier
	s_movk_i32 s18, 0x47af
	v_mul_f64 v[36:37], v[34:35], v[186:187]
	v_fma_f64 v[92:93], v[32:33], v[184:185], -v[36:37]
	v_mul_f64 v[32:33], v[32:33], v[186:187]
	v_add_f64 v[36:37], v[130:131], -v[136:137]
	v_fma_f64 v[84:85], v[34:35], v[184:185], v[32:33]
	v_mul_f64 v[32:33], v[26:27], v[210:211]
	v_add_f64 v[34:35], v[134:135], -v[136:137]
	v_fma_f64 v[94:95], v[24:25], v[208:209], -v[32:33]
	v_mul_f64 v[24:25], v[24:25], v[210:211]
	v_add_f64 v[32:33], v[136:137], -v[134:135]
	v_fma_f64 v[86:87], v[26:27], v[208:209], v[24:25]
	v_mul_f64 v[24:25], v[22:23], v[222:223]
	v_add_f64 v[26:27], v[138:139], -v[118:119]
	;; [unrolled: 6-line block ×3, first 2 shown]
	v_add_f64 v[32:33], v[24:25], v[32:33]
	v_fma_f64 v[98:99], v[16:17], v[252:253], -v[20:21]
	v_mul_f64 v[16:17], v[16:17], v[254:255]
	v_fma_f64 v[90:91], v[18:19], v[252:253], v[16:17]
	v_add_f64 v[18:19], v[132:133], v[134:135]
	v_add_f64 v[16:17], v[28:29], v[130:131]
	v_fma_f64 v[18:19], v[18:19], -0.5, v[28:29]
	v_add_f64 v[16:17], v[16:17], v[132:133]
	v_fma_f64 v[20:21], v[22:23], s[4:5], v[18:19]
	v_fma_f64 v[18:19], v[22:23], s[14:15], v[18:19]
	v_add_f64 v[16:17], v[16:17], v[134:135]
	v_fma_f64 v[20:21], v[26:27], s[8:9], v[20:21]
	v_fma_f64 v[18:19], v[26:27], s[6:7], v[18:19]
	v_add_f64 v[16:17], v[16:17], v[136:137]
	v_fma_f64 v[24:25], v[32:33], s[2:3], v[20:21]
	v_fma_f64 v[20:21], v[32:33], s[2:3], v[18:19]
	v_add_f64 v[18:19], v[130:131], v[136:137]
	v_add_f64 v[32:33], v[132:133], -v[130:131]
	v_mov_b32_e32 v136, s11
	v_fma_f64 v[18:19], v[18:19], -0.5, v[28:29]
	v_add_f64 v[34:35], v[32:33], v[34:35]
	v_fma_f64 v[28:29], v[26:27], s[14:15], v[18:19]
	v_fma_f64 v[18:19], v[26:27], s[4:5], v[18:19]
	;; [unrolled: 1-line block ×4, first 2 shown]
	v_add_f64 v[22:23], v[138:139], v[118:119]
	v_fma_f64 v[32:33], v[34:35], s[2:3], v[28:29]
	v_fma_f64 v[28:29], v[34:35], s[2:3], v[18:19]
	v_fma_f64 v[22:23], v[22:23], -0.5, v[30:31]
	v_add_f64 v[34:35], v[114:115], -v[138:139]
	v_add_f64 v[18:19], v[30:31], v[114:115]
	v_fma_f64 v[26:27], v[36:37], s[14:15], v[22:23]
	v_fma_f64 v[22:23], v[36:37], s[4:5], v[22:23]
	v_add_f64 v[34:35], v[34:35], v[40:41]
	v_add_f64 v[40:41], v[138:139], -v[114:115]
	v_add_f64 v[18:19], v[18:19], v[138:139]
	v_fma_f64 v[26:27], v[38:39], s[6:7], v[26:27]
	v_fma_f64 v[22:23], v[38:39], s[8:9], v[22:23]
	v_add_f64 v[40:41], v[40:41], v[42:43]
	v_add_f64 v[42:43], v[60:61], -v[74:75]
	v_add_f64 v[18:19], v[18:19], v[118:119]
	v_fma_f64 v[26:27], v[34:35], s[2:3], v[26:27]
	v_fma_f64 v[22:23], v[34:35], s[2:3], v[22:23]
	v_add_f64 v[34:35], v[114:115], v[120:121]
	v_add_f64 v[114:115], v[80:81], -v[58:59]
	v_add_f64 v[18:19], v[18:19], v[120:121]
	v_fma_f64 v[30:31], v[34:35], -0.5, v[30:31]
	v_fma_f64 v[34:35], v[38:39], s[4:5], v[30:31]
	v_fma_f64 v[30:31], v[38:39], s[14:15], v[30:31]
	v_add_f64 v[38:39], v[124:125], v[126:127]
	v_fma_f64 v[34:35], v[36:37], s[6:7], v[34:35]
	v_fma_f64 v[30:31], v[36:37], s[8:9], v[30:31]
	v_fma_f64 v[38:39], v[38:39], -0.5, v[12:13]
	v_add_f64 v[36:37], v[12:13], v[122:123]
	v_fma_f64 v[34:35], v[40:41], s[2:3], v[34:35]
	v_fma_f64 v[30:31], v[40:41], s[2:3], v[30:31]
	;; [unrolled: 1-line block ×4, first 2 shown]
	v_add_f64 v[36:37], v[36:37], v[124:125]
	v_fma_f64 v[40:41], v[46:47], s[8:9], v[40:41]
	v_fma_f64 v[38:39], v[46:47], s[6:7], v[38:39]
	v_add_f64 v[36:37], v[36:37], v[126:127]
	v_fma_f64 v[44:45], v[48:49], s[2:3], v[40:41]
	v_fma_f64 v[40:41], v[48:49], s[2:3], v[38:39]
	v_add_f64 v[38:39], v[122:123], v[128:129]
	v_add_f64 v[48:49], v[124:125], -v[122:123]
	v_add_f64 v[36:37], v[36:37], v[128:129]
	v_fma_f64 v[12:13], v[38:39], -0.5, v[12:13]
	v_add_f64 v[50:51], v[48:49], v[50:51]
	v_fma_f64 v[38:39], v[46:47], s[14:15], v[12:13]
	v_fma_f64 v[12:13], v[46:47], s[4:5], v[12:13]
	;; [unrolled: 1-line block ×4, first 2 shown]
	v_add_f64 v[42:43], v[62:63], v[64:65]
	v_fma_f64 v[48:49], v[50:51], s[2:3], v[38:39]
	v_fma_f64 v[12:13], v[50:51], s[2:3], v[12:13]
	v_fma_f64 v[42:43], v[42:43], -0.5, v[14:15]
	v_add_f64 v[50:51], v[60:61], -v[62:63]
	v_add_f64 v[38:39], v[14:15], v[60:61]
	v_fma_f64 v[46:47], v[52:53], s[14:15], v[42:43]
	v_fma_f64 v[42:43], v[52:53], s[4:5], v[42:43]
	v_add_f64 v[50:51], v[50:51], v[56:57]
	v_add_f64 v[38:39], v[38:39], v[62:63]
	v_add_f64 v[56:57], v[62:63], -v[60:61]
	v_add_f64 v[62:63], v[66:67], -v[72:73]
	v_fma_f64 v[46:47], v[54:55], s[6:7], v[46:47]
	v_fma_f64 v[42:43], v[54:55], s[8:9], v[42:43]
	v_add_f64 v[38:39], v[38:39], v[64:65]
	v_fma_f64 v[46:47], v[50:51], s[2:3], v[46:47]
	v_fma_f64 v[42:43], v[50:51], s[2:3], v[42:43]
	v_add_f64 v[50:51], v[60:61], v[74:75]
	v_add_f64 v[60:61], v[64:65], -v[74:75]
	v_add_f64 v[38:39], v[38:39], v[74:75]
	v_add_f64 v[74:75], v[68:69], -v[70:71]
	v_add_f64 v[64:65], v[58:59], -v[80:81]
	v_fma_f64 v[14:15], v[50:51], -0.5, v[14:15]
	v_add_f64 v[56:57], v[56:57], v[60:61]
	v_add_f64 v[60:61], v[76:77], -v[78:79]
	v_fma_f64 v[50:51], v[54:55], s[4:5], v[14:15]
	v_fma_f64 v[14:15], v[54:55], s[14:15], v[14:15]
	v_add_f64 v[54:55], v[78:79], v[80:81]
	v_add_f64 v[64:65], v[60:61], v[64:65]
	v_fma_f64 v[50:51], v[52:53], s[6:7], v[50:51]
	v_fma_f64 v[14:15], v[52:53], s[8:9], v[14:15]
	v_fma_f64 v[54:55], v[54:55], -0.5, v[8:9]
	v_add_f64 v[52:53], v[8:9], v[76:77]
	v_fma_f64 v[50:51], v[56:57], s[2:3], v[50:51]
	v_fma_f64 v[14:15], v[56:57], s[2:3], v[14:15]
	v_fma_f64 v[56:57], v[62:63], s[4:5], v[54:55]
	v_fma_f64 v[54:55], v[62:63], s[14:15], v[54:55]
	v_add_f64 v[52:53], v[52:53], v[78:79]
	v_fma_f64 v[56:57], v[74:75], s[8:9], v[56:57]
	v_fma_f64 v[54:55], v[74:75], s[6:7], v[54:55]
	v_add_f64 v[52:53], v[52:53], v[80:81]
	v_fma_f64 v[60:61], v[64:65], s[2:3], v[56:57]
	v_fma_f64 v[56:57], v[64:65], s[2:3], v[54:55]
	v_add_f64 v[54:55], v[76:77], v[58:59]
	v_add_f64 v[64:65], v[78:79], -v[76:77]
	v_add_f64 v[76:77], v[76:77], -v[58:59]
	v_add_f64 v[52:53], v[52:53], v[58:59]
	v_add_f64 v[78:79], v[78:79], -v[80:81]
	v_add_f64 v[80:81], v[72:73], -v[70:71]
	v_fma_f64 v[8:9], v[54:55], -0.5, v[8:9]
	v_add_f64 v[114:115], v[64:65], v[114:115]
	v_fma_f64 v[54:55], v[74:75], s[14:15], v[8:9]
	v_fma_f64 v[8:9], v[74:75], s[4:5], v[8:9]
	;; [unrolled: 1-line block ×4, first 2 shown]
	v_add_f64 v[62:63], v[68:69], v[70:71]
	v_fma_f64 v[64:65], v[114:115], s[2:3], v[54:55]
	v_add_f64 v[54:55], v[10:11], v[66:67]
	v_fma_f64 v[74:75], v[62:63], -0.5, v[10:11]
	v_add_f64 v[62:63], v[66:67], -v[68:69]
	v_fma_f64 v[8:9], v[114:115], s[2:3], v[8:9]
	v_add_f64 v[114:115], v[110:111], -v[112:113]
	v_add_f64 v[54:55], v[54:55], v[68:69]
	v_fma_f64 v[58:59], v[76:77], s[14:15], v[74:75]
	v_add_f64 v[80:81], v[62:63], v[80:81]
	v_add_f64 v[54:55], v[54:55], v[70:71]
	v_fma_f64 v[58:59], v[78:79], s[6:7], v[58:59]
	v_add_f64 v[54:55], v[54:55], v[72:73]
	v_fma_f64 v[62:63], v[80:81], s[2:3], v[58:59]
	v_fma_f64 v[58:59], v[76:77], s[4:5], v[74:75]
	v_add_f64 v[74:75], v[66:67], v[72:73]
	v_add_f64 v[66:67], v[68:69], -v[66:67]
	v_add_f64 v[68:69], v[70:71], -v[72:73]
	v_add_f64 v[70:71], v[108:109], v[110:111]
	v_fma_f64 v[58:59], v[78:79], s[8:9], v[58:59]
	v_fma_f64 v[10:11], v[74:75], -0.5, v[10:11]
	v_add_f64 v[68:69], v[66:67], v[68:69]
	v_fma_f64 v[70:71], v[70:71], -0.5, v[4:5]
	v_fma_f64 v[58:59], v[80:81], s[2:3], v[58:59]
	v_fma_f64 v[74:75], v[78:79], s[4:5], v[10:11]
	;; [unrolled: 1-line block ×3, first 2 shown]
	v_add_f64 v[78:79], v[100:101], -v[102:103]
	v_add_f64 v[80:81], v[112:113], -v[110:111]
	v_fma_f64 v[74:75], v[76:77], s[6:7], v[74:75]
	v_fma_f64 v[10:11], v[76:77], s[8:9], v[10:11]
	v_add_f64 v[76:77], v[106:107], -v[108:109]
	v_fma_f64 v[66:67], v[68:69], s[2:3], v[74:75]
	v_add_f64 v[74:75], v[82:83], -v[104:105]
	v_add_f64 v[80:81], v[76:77], v[80:81]
	v_fma_f64 v[10:11], v[68:69], s[2:3], v[10:11]
	v_add_f64 v[68:69], v[4:5], v[106:107]
	v_fma_f64 v[72:73], v[74:75], s[4:5], v[70:71]
	v_fma_f64 v[70:71], v[74:75], s[14:15], v[70:71]
	v_add_f64 v[68:69], v[68:69], v[108:109]
	v_fma_f64 v[72:73], v[78:79], s[8:9], v[72:73]
	;; [unrolled: 3-line block ×3, first 2 shown]
	v_fma_f64 v[72:73], v[80:81], s[2:3], v[70:71]
	v_add_f64 v[70:71], v[106:107], v[112:113]
	v_add_f64 v[80:81], v[108:109], -v[106:107]
	v_add_f64 v[106:107], v[106:107], -v[112:113]
	v_add_f64 v[68:69], v[68:69], v[112:113]
	v_add_f64 v[108:109], v[108:109], -v[110:111]
	v_add_f64 v[110:111], v[82:83], -v[100:101]
	;; [unrolled: 1-line block ×3, first 2 shown]
	v_fma_f64 v[4:5], v[70:71], -0.5, v[4:5]
	v_add_f64 v[114:115], v[80:81], v[114:115]
	v_add_f64 v[110:111], v[110:111], v[112:113]
	v_add_f64 v[112:113], v[98:99], -v[96:97]
	v_fma_f64 v[70:71], v[78:79], s[14:15], v[4:5]
	v_fma_f64 v[4:5], v[78:79], s[4:5], v[4:5]
	;; [unrolled: 1-line block ×4, first 2 shown]
	v_add_f64 v[74:75], v[100:101], v[102:103]
	v_fma_f64 v[80:81], v[114:115], s[2:3], v[70:71]
	v_add_f64 v[70:71], v[6:7], v[82:83]
	v_fma_f64 v[74:75], v[74:75], -0.5, v[6:7]
	v_fma_f64 v[4:5], v[114:115], s[2:3], v[4:5]
	v_add_f64 v[114:115], v[96:97], -v[98:99]
	v_add_f64 v[70:71], v[70:71], v[100:101]
	v_fma_f64 v[78:79], v[106:107], s[14:15], v[74:75]
	v_fma_f64 v[74:75], v[106:107], s[4:5], v[74:75]
	v_add_f64 v[70:71], v[70:71], v[102:103]
	v_fma_f64 v[78:79], v[108:109], s[6:7], v[78:79]
	v_fma_f64 v[74:75], v[108:109], s[8:9], v[74:75]
	;; [unrolled: 3-line block ×3, first 2 shown]
	v_add_f64 v[110:111], v[82:83], v[104:105]
	v_add_f64 v[82:83], v[100:101], -v[82:83]
	v_add_f64 v[100:101], v[102:103], -v[104:105]
	v_add_f64 v[102:103], v[94:95], v[96:97]
	v_fma_f64 v[6:7], v[110:111], -0.5, v[6:7]
	v_add_f64 v[100:101], v[82:83], v[100:101]
	v_fma_f64 v[102:103], v[102:103], -0.5, v[0:1]
	v_fma_f64 v[110:111], v[108:109], s[4:5], v[6:7]
	v_fma_f64 v[6:7], v[108:109], s[14:15], v[6:7]
	v_add_f64 v[108:109], v[92:93], -v[94:95]
	v_fma_f64 v[110:111], v[106:107], s[6:7], v[110:111]
	v_fma_f64 v[6:7], v[106:107], s[8:9], v[6:7]
	v_add_f64 v[106:107], v[84:85], -v[90:91]
	v_add_f64 v[108:109], v[108:109], v[112:113]
	v_add_f64 v[112:113], v[94:95], -v[92:93]
	v_fma_f64 v[82:83], v[100:101], s[2:3], v[110:111]
	v_add_f64 v[110:111], v[86:87], -v[88:89]
	v_fma_f64 v[104:105], v[106:107], s[4:5], v[102:103]
	v_fma_f64 v[102:103], v[106:107], s[14:15], v[102:103]
	;; [unrolled: 1-line block ×3, first 2 shown]
	v_add_f64 v[100:101], v[0:1], v[92:93]
	v_add_f64 v[112:113], v[112:113], v[114:115]
	v_fma_f64 v[104:105], v[110:111], s[8:9], v[104:105]
	v_fma_f64 v[102:103], v[110:111], s[6:7], v[102:103]
	v_add_f64 v[100:101], v[100:101], v[94:95]
	v_add_f64 v[94:95], v[94:95], -v[96:97]
	v_fma_f64 v[104:105], v[108:109], s[2:3], v[104:105]
	v_fma_f64 v[108:109], v[108:109], s[2:3], v[102:103]
	v_add_f64 v[102:103], v[92:93], v[98:99]
	v_add_f64 v[100:101], v[100:101], v[96:97]
	v_add_f64 v[92:93], v[92:93], -v[98:99]
	v_fma_f64 v[102:103], v[102:103], -0.5, v[0:1]
	v_add_f64 v[100:101], v[100:101], v[98:99]
	v_fma_f64 v[0:1], v[110:111], s[14:15], v[102:103]
	v_fma_f64 v[102:103], v[110:111], s[4:5], v[102:103]
	;; [unrolled: 1-line block ×4, first 2 shown]
	v_add_f64 v[106:107], v[86:87], v[88:89]
	v_fma_f64 v[0:1], v[112:113], s[2:3], v[0:1]
	v_fma_f64 v[112:113], v[112:113], s[2:3], v[102:103]
	v_fma_f64 v[110:111], v[106:107], -0.5, v[2:3]
	v_add_f64 v[106:107], v[90:91], -v[88:89]
	v_add_f64 v[102:103], v[2:3], v[84:85]
	v_fma_f64 v[98:99], v[92:93], s[14:15], v[110:111]
	v_add_f64 v[102:103], v[102:103], v[86:87]
	v_fma_f64 v[96:97], v[94:95], s[6:7], v[98:99]
	v_add_f64 v[98:99], v[84:85], -v[86:87]
	v_add_f64 v[102:103], v[102:103], v[88:89]
	v_add_f64 v[98:99], v[98:99], v[106:107]
	;; [unrolled: 1-line block ×3, first 2 shown]
	v_fma_f64 v[106:107], v[98:99], s[2:3], v[96:97]
	v_fma_f64 v[96:97], v[92:93], s[4:5], v[110:111]
	;; [unrolled: 1-line block ×4, first 2 shown]
	v_add_f64 v[96:97], v[84:85], v[90:91]
	v_add_f64 v[84:85], v[86:87], -v[84:85]
	v_add_f64 v[86:87], v[88:89], -v[90:91]
	v_fma_f64 v[96:97], v[96:97], -0.5, v[2:3]
	v_add_f64 v[84:85], v[84:85], v[86:87]
	v_fma_f64 v[2:3], v[94:95], s[4:5], v[96:97]
	v_fma_f64 v[86:87], v[94:95], s[14:15], v[96:97]
	;; [unrolled: 1-line block ×6, first 2 shown]
	v_mul_u32_u24_e32 v84, 25, v141
	v_add_lshl_u32 v139, v84, v142, 4
	ds_write_b128 v139, v[16:19]
	ds_write_b128 v139, v[24:27] offset:80
	ds_write_b128 v139, v[32:35] offset:160
	;; [unrolled: 1-line block ×4, first 2 shown]
	v_mul_u32_u24_e32 v16, 25, v143
	v_add_lshl_u32 v149, v16, v144, 4
	ds_write_b128 v149, v[36:39]
	ds_write_b128 v149, v[44:47] offset:80
	ds_write_b128 v149, v[48:51] offset:160
	ds_write_b128 v149, v[12:15] offset:240
	ds_write_b128 v149, v[40:43] offset:320
	v_mad_legacy_u16 v12, v145, 25, v146
	v_lshlrev_b32_e32 v150, 4, v12
	ds_write_b128 v150, v[52:55]
	ds_write_b128 v150, v[60:63] offset:80
	ds_write_b128 v150, v[64:67] offset:160
	ds_write_b128 v150, v[8:11] offset:240
	ds_write_b128 v150, v[56:59] offset:320
	v_mad_legacy_u16 v8, v147, 25, v148
	v_lshlrev_b32_e32 v151, 4, v8
	;; [unrolled: 7-line block ×3, first 2 shown]
	buffer_store_dword v4, off, s[24:27], 0 offset:620 ; 4-byte Folded Spill
	ds_write_b128 v4, v[100:103]
	ds_write_b128 v4, v[104:107] offset:80
	ds_write_b128 v4, v[0:3] offset:160
	;; [unrolled: 1-line block ×4, first 2 shown]
	v_mov_b32_e32 v102, 41
	v_mul_lo_u16_sdwa v100, v158, v102 dst_sel:DWORD dst_unused:UNUSED_PAD src0_sel:BYTE_0 src1_sel:DWORD
	v_lshrrev_b16_e32 v137, 10, v100
	v_mul_lo_u16_e32 v100, 25, v137
	v_sub_u16_e32 v100, v158, v100
	v_and_b32_e32 v138, 0xff, v100
	s_waitcnt vmcnt(0) lgkmcnt(0)
	s_barrier
	ds_read_b128 v[24:27], v116
	ds_read_b128 v[68:71], v116 offset:10000
	ds_read_b128 v[72:75], v116 offset:20000
	;; [unrolled: 1-line block ×24, first 2 shown]
	buffer_store_dword v176, off, s[24:27], 0 offset:408 ; 4-byte Folded Spill
	v_lshlrev_b32_e32 v100, 6, v138
	global_load_dwordx4 v[103:106], v100, s[10:11] offset:368
	global_load_dwordx4 v[107:110], v100, s[10:11] offset:352
	;; [unrolled: 1-line block ×4, first 2 shown]
	s_waitcnt vmcnt(0)
	buffer_store_dword v118, off, s[24:27], 0 offset:672 ; 4-byte Folded Spill
	s_nop 0
	buffer_store_dword v119, off, s[24:27], 0 offset:676 ; 4-byte Folded Spill
	buffer_store_dword v120, off, s[24:27], 0 offset:680 ; 4-byte Folded Spill
	buffer_store_dword v121, off, s[24:27], 0 offset:684 ; 4-byte Folded Spill
	buffer_store_dword v111, off, s[24:27], 0 offset:656 ; 4-byte Folded Spill
	s_nop 0
	buffer_store_dword v112, off, s[24:27], 0 offset:660 ; 4-byte Folded Spill
	buffer_store_dword v113, off, s[24:27], 0 offset:664 ; 4-byte Folded Spill
	buffer_store_dword v114, off, s[24:27], 0 offset:668 ; 4-byte Folded Spill
	;; [unrolled: 5-line block ×4, first 2 shown]
	s_waitcnt lgkmcnt(14)
	v_mul_f64 v[100:101], v[70:71], v[120:121]
	v_fma_f64 v[168:169], v[68:69], v[118:119], -v[100:101]
	v_mul_f64 v[68:69], v[68:69], v[120:121]
	v_fma_f64 v[118:119], v[70:71], v[118:119], v[68:69]
	v_mul_f64 v[68:69], v[74:75], v[113:114]
	v_fma_f64 v[170:171], v[72:73], v[111:112], -v[68:69]
	v_mul_f64 v[68:69], v[72:73], v[113:114]
	v_fma_f64 v[120:121], v[74:75], v[111:112], v[68:69]
	;; [unrolled: 4-line block ×4, first 2 shown]
	v_mul_lo_u16_sdwa v68, v152, v102 dst_sel:DWORD dst_unused:UNUSED_PAD src0_sel:BYTE_0 src1_sel:DWORD
	v_lshrrev_b16_e32 v156, 10, v68
	v_mul_lo_u16_e32 v68, 25, v156
	v_sub_u16_e32 v68, v152, v68
	v_and_b32_e32 v157, 0xff, v68
	v_lshlrev_b32_e32 v68, 6, v157
	global_load_dwordx4 v[70:73], v68, s[10:11] offset:368
	s_waitcnt vmcnt(0)
	buffer_store_dword v70, off, s[24:27], 0 offset:744 ; 4-byte Folded Spill
	s_nop 0
	buffer_store_dword v71, off, s[24:27], 0 offset:748 ; 4-byte Folded Spill
	buffer_store_dword v72, off, s[24:27], 0 offset:752 ; 4-byte Folded Spill
	;; [unrolled: 1-line block ×3, first 2 shown]
	global_load_dwordx4 v[74:77], v68, s[10:11] offset:352
	global_load_dwordx4 v[100:103], v68, s[10:11] offset:336
	;; [unrolled: 1-line block ×3, first 2 shown]
	s_waitcnt vmcnt(0)
	buffer_store_dword v104, off, s[24:27], 0 offset:696 ; 4-byte Folded Spill
	s_nop 0
	buffer_store_dword v105, off, s[24:27], 0 offset:700 ; 4-byte Folded Spill
	buffer_store_dword v106, off, s[24:27], 0 offset:704 ; 4-byte Folded Spill
	buffer_store_dword v107, off, s[24:27], 0 offset:708 ; 4-byte Folded Spill
	buffer_store_dword v100, off, s[24:27], 0 offset:712 ; 4-byte Folded Spill
	s_nop 0
	buffer_store_dword v101, off, s[24:27], 0 offset:716 ; 4-byte Folded Spill
	buffer_store_dword v102, off, s[24:27], 0 offset:720 ; 4-byte Folded Spill
	buffer_store_dword v103, off, s[24:27], 0 offset:724 ; 4-byte Folded Spill
	;; [unrolled: 5-line block ×3, first 2 shown]
	v_mul_f64 v[68:69], v[86:87], v[106:107]
	v_fma_f64 v[126:127], v[84:85], v[104:105], -v[68:69]
	v_mul_f64 v[68:69], v[84:85], v[106:107]
	v_fma_f64 v[80:81], v[86:87], v[104:105], v[68:69]
	v_mul_f64 v[68:69], v[90:91], v[102:103]
	v_fma_f64 v[128:129], v[88:89], v[100:101], -v[68:69]
	v_mul_f64 v[68:69], v[88:89], v[102:103]
	v_fma_f64 v[112:113], v[90:91], v[100:101], v[68:69]
	v_mul_f64 v[68:69], v[94:95], v[76:77]
	v_fma_f64 v[130:131], v[92:93], v[74:75], -v[68:69]
	v_mul_f64 v[68:69], v[92:93], v[76:77]
	v_fma_f64 v[114:115], v[94:95], v[74:75], v[68:69]
	v_mul_f64 v[68:69], v[98:99], v[72:73]
	v_fma_f64 v[132:133], v[96:97], v[70:71], -v[68:69]
	v_mul_f64 v[68:69], v[96:97], v[72:73]
	v_fma_f64 v[134:135], v[98:99], v[70:71], v[68:69]
	v_mul_u32_u24_sdwa v68, v153, s18 dst_sel:DWORD dst_unused:UNUSED_PAD src0_sel:WORD_0 src1_sel:DWORD
	v_sub_u16_sdwa v69, v153, v68 dst_sel:DWORD dst_unused:UNUSED_PAD src0_sel:DWORD src1_sel:WORD_1
	v_lshrrev_b16_e32 v69, 1, v69
	v_add_u16_sdwa v68, v69, v68 dst_sel:DWORD dst_unused:UNUSED_PAD src0_sel:DWORD src1_sel:WORD_1
	v_lshrrev_b16_e32 v158, 4, v68
	v_mul_lo_u16_e32 v68, 25, v158
	v_sub_u16_e32 v159, v153, v68
	v_lshlrev_b16_e32 v68, 6, v159
	v_add_co_u32_e32 v68, vcc, s10, v68
	v_addc_co_u32_e32 v69, vcc, 0, v136, vcc
	global_load_dwordx4 v[72:75], v[68:69], off offset:368
	global_load_dwordx4 v[82:85], v[68:69], off offset:352
	;; [unrolled: 1-line block ×4, first 2 shown]
	s_waitcnt vmcnt(0) lgkmcnt(13)
	v_mul_f64 v[68:69], v[66:67], v[92:93]
	v_fma_f64 v[76:77], v[64:65], v[90:91], -v[68:69]
	buffer_store_dword v90, off, s[24:27], 0 offset:888 ; 4-byte Folded Spill
	s_nop 0
	buffer_store_dword v91, off, s[24:27], 0 offset:892 ; 4-byte Folded Spill
	buffer_store_dword v92, off, s[24:27], 0 offset:896 ; 4-byte Folded Spill
	buffer_store_dword v93, off, s[24:27], 0 offset:900 ; 4-byte Folded Spill
	buffer_store_dword v86, off, s[24:27], 0 offset:904 ; 4-byte Folded Spill
	s_nop 0
	buffer_store_dword v87, off, s[24:27], 0 offset:908 ; 4-byte Folded Spill
	buffer_store_dword v88, off, s[24:27], 0 offset:912 ; 4-byte Folded Spill
	buffer_store_dword v89, off, s[24:27], 0 offset:916 ; 4-byte Folded Spill
	;; [unrolled: 5-line block ×4, first 2 shown]
	v_mul_f64 v[64:65], v[64:65], v[92:93]
	v_fma_f64 v[66:67], v[66:67], v[90:91], v[64:65]
	s_waitcnt lgkmcnt(12)
	v_mul_f64 v[64:65], v[62:63], v[88:89]
	v_fma_f64 v[110:111], v[60:61], v[86:87], -v[64:65]
	v_mul_f64 v[60:61], v[60:61], v[88:89]
	v_fma_f64 v[68:69], v[62:63], v[86:87], v[60:61]
	s_waitcnt lgkmcnt(11)
	v_mul_f64 v[60:61], v[58:59], v[84:85]
	v_fma_f64 v[62:63], v[56:57], v[82:83], -v[60:61]
	v_mul_f64 v[56:57], v[56:57], v[84:85]
	v_add_f64 v[60:61], v[114:115], -v[134:135]
	v_fma_f64 v[70:71], v[58:59], v[82:83], v[56:57]
	s_waitcnt lgkmcnt(10)
	v_mul_f64 v[56:57], v[54:55], v[74:75]
	v_fma_f64 v[58:59], v[52:53], v[72:73], -v[56:57]
	v_mul_f64 v[52:53], v[52:53], v[74:75]
	v_add_f64 v[64:65], v[58:59], -v[62:63]
	v_fma_f64 v[72:73], v[54:55], v[72:73], v[52:53]
	v_mul_u32_u24_sdwa v52, v154, s18 dst_sel:DWORD dst_unused:UNUSED_PAD src0_sel:WORD_0 src1_sel:DWORD
	v_sub_u16_sdwa v53, v154, v52 dst_sel:DWORD dst_unused:UNUSED_PAD src0_sel:DWORD src1_sel:WORD_1
	v_lshrrev_b16_e32 v53, 1, v53
	v_add_u16_sdwa v52, v53, v52 dst_sel:DWORD dst_unused:UNUSED_PAD src0_sel:DWORD src1_sel:WORD_1
	v_lshrrev_b16_e32 v160, 4, v52
	v_mul_lo_u16_e32 v52, 25, v160
	v_sub_u16_e32 v161, v154, v52
	v_lshlrev_b16_e32 v52, 6, v161
	v_add_co_u32_e32 v52, vcc, s10, v52
	v_addc_co_u32_e32 v53, vcc, 0, v136, vcc
	global_load_dwordx4 v[54:57], v[52:53], off offset:368
	global_load_dwordx4 v[84:87], v[52:53], off offset:352
	;; [unrolled: 1-line block ×4, first 2 shown]
	s_waitcnt vmcnt(0) lgkmcnt(8)
	v_mul_f64 v[52:53], v[50:51], v[94:95]
	v_fma_f64 v[74:75], v[48:49], v[92:93], -v[52:53]
	buffer_store_dword v92, off, s[24:27], 0 offset:1020 ; 4-byte Folded Spill
	s_nop 0
	buffer_store_dword v93, off, s[24:27], 0 offset:1024 ; 4-byte Folded Spill
	buffer_store_dword v94, off, s[24:27], 0 offset:1028 ; 4-byte Folded Spill
	buffer_store_dword v95, off, s[24:27], 0 offset:1032 ; 4-byte Folded Spill
	buffer_store_dword v88, off, s[24:27], 0 offset:1036 ; 4-byte Folded Spill
	s_nop 0
	buffer_store_dword v89, off, s[24:27], 0 offset:1040 ; 4-byte Folded Spill
	buffer_store_dword v90, off, s[24:27], 0 offset:1044 ; 4-byte Folded Spill
	buffer_store_dword v91, off, s[24:27], 0 offset:1048 ; 4-byte Folded Spill
	buffer_store_dword v84, off, s[24:27], 0 offset:1068 ; 4-byte Folded Spill
	s_nop 0
	buffer_store_dword v85, off, s[24:27], 0 offset:1072 ; 4-byte Folded Spill
	buffer_store_dword v86, off, s[24:27], 0 offset:1076 ; 4-byte Folded Spill
	buffer_store_dword v87, off, s[24:27], 0 offset:1080 ; 4-byte Folded Spill
	buffer_store_dword v54, off, s[24:27], 0 offset:1084 ; 4-byte Folded Spill
	s_nop 0
	buffer_store_dword v55, off, s[24:27], 0 offset:1088 ; 4-byte Folded Spill
	buffer_store_dword v56, off, s[24:27], 0 offset:1092 ; 4-byte Folded Spill
	buffer_store_dword v57, off, s[24:27], 0 offset:1096 ; 4-byte Folded Spill
	v_add_f64 v[52:53], v[126:127], -v[132:133]
	v_mul_f64 v[48:49], v[48:49], v[94:95]
	v_fma_f64 v[82:83], v[50:51], v[92:93], v[48:49]
	s_waitcnt lgkmcnt(7)
	v_mul_f64 v[48:49], v[46:47], v[90:91]
	v_add_f64 v[50:51], v[130:131], -v[132:133]
	v_fma_f64 v[78:79], v[44:45], v[88:89], -v[48:49]
	v_mul_f64 v[44:45], v[44:45], v[90:91]
	v_add_f64 v[48:49], v[132:133], -v[130:131]
	v_fma_f64 v[98:99], v[46:47], v[88:89], v[44:45]
	s_waitcnt lgkmcnt(6)
	v_mul_f64 v[44:45], v[42:43], v[86:87]
	v_add_f64 v[46:47], v[112:113], -v[114:115]
	v_fma_f64 v[106:107], v[40:41], v[84:85], -v[44:45]
	v_mul_f64 v[40:41], v[40:41], v[86:87]
	v_add_f64 v[44:45], v[126:127], -v[128:129]
	v_fma_f64 v[102:103], v[42:43], v[84:85], v[40:41]
	s_waitcnt lgkmcnt(5)
	v_mul_f64 v[40:41], v[38:39], v[56:57]
	v_add_f64 v[42:43], v[122:123], -v[124:125]
	v_add_f64 v[48:49], v[44:45], v[48:49]
	v_fma_f64 v[108:109], v[36:37], v[54:55], -v[40:41]
	v_mul_f64 v[36:37], v[36:37], v[56:57]
	v_add_f64 v[56:57], v[134:135], -v[114:115]
	v_fma_f64 v[104:105], v[38:39], v[54:55], v[36:37]
	v_mul_u32_u24_sdwa v36, v155, s18 dst_sel:DWORD dst_unused:UNUSED_PAD src0_sel:WORD_0 src1_sel:DWORD
	v_sub_u16_sdwa v37, v155, v36 dst_sel:DWORD dst_unused:UNUSED_PAD src0_sel:DWORD src1_sel:WORD_1
	v_lshrrev_b16_e32 v37, 1, v37
	v_add_u16_sdwa v36, v37, v36 dst_sel:DWORD dst_unused:UNUSED_PAD src0_sel:DWORD src1_sel:WORD_1
	v_lshrrev_b16_e32 v162, 4, v36
	v_mul_lo_u16_e32 v36, 25, v162
	v_sub_u16_e32 v163, v155, v36
	v_lshlrev_b16_e32 v36, 6, v163
	v_add_co_u32_e32 v36, vcc, s10, v36
	v_addc_co_u32_e32 v37, vcc, 0, v136, vcc
	global_load_dwordx4 v[38:41], v[36:37], off offset:368
	global_load_dwordx4 v[164:167], v[36:37], off offset:352
	;; [unrolled: 1-line block ×4, first 2 shown]
	s_waitcnt vmcnt(3)
	buffer_store_dword v38, off, s[24:27], 0 offset:1164 ; 4-byte Folded Spill
	s_nop 0
	buffer_store_dword v39, off, s[24:27], 0 offset:1168 ; 4-byte Folded Spill
	buffer_store_dword v40, off, s[24:27], 0 offset:1172 ; 4-byte Folded Spill
	;; [unrolled: 1-line block ×3, first 2 shown]
	v_add_f64 v[54:55], v[128:129], -v[130:131]
	s_waitcnt vmcnt(4) lgkmcnt(0)
	v_mul_f64 v[36:37], v[30:31], v[143:144]
	s_waitcnt vmcnt(0)
	s_barrier
	v_fma_f64 v[92:93], v[28:29], v[141:142], -v[36:37]
	v_mul_f64 v[28:29], v[28:29], v[143:144]
	v_add_f64 v[36:37], v[168:169], -v[174:175]
	v_fma_f64 v[84:85], v[30:31], v[141:142], v[28:29]
	v_mul_f64 v[28:29], v[22:23], v[147:148]
	v_add_f64 v[30:31], v[172:173], -v[174:175]
	v_fma_f64 v[94:95], v[20:21], v[145:146], -v[28:29]
	v_mul_f64 v[20:21], v[20:21], v[147:148]
	v_add_f64 v[28:29], v[174:175], -v[172:173]
	v_fma_f64 v[86:87], v[22:23], v[145:146], v[20:21]
	v_mul_f64 v[20:21], v[18:19], v[166:167]
	v_add_f64 v[22:23], v[120:121], -v[122:123]
	v_fma_f64 v[96:97], v[16:17], v[164:165], -v[20:21]
	v_mul_f64 v[16:17], v[16:17], v[166:167]
	v_add_f64 v[20:21], v[168:169], -v[170:171]
	v_fma_f64 v[88:89], v[18:19], v[164:165], v[16:17]
	v_add_f64 v[18:19], v[118:119], -v[124:125]
	v_add_f64 v[28:29], v[20:21], v[28:29]
	v_mul_f64 v[16:17], v[14:15], v[40:41]
	v_fma_f64 v[100:101], v[12:13], v[38:39], -v[16:17]
	v_mul_f64 v[12:13], v[12:13], v[40:41]
	v_add_f64 v[40:41], v[124:125], -v[122:123]
	v_fma_f64 v[90:91], v[14:15], v[38:39], v[12:13]
	v_add_f64 v[14:15], v[170:171], v[172:173]
	v_add_f64 v[12:13], v[24:25], v[168:169]
	v_add_f64 v[38:39], v[170:171], -v[172:173]
	v_fma_f64 v[14:15], v[14:15], -0.5, v[24:25]
	v_add_f64 v[12:13], v[12:13], v[170:171]
	v_fma_f64 v[16:17], v[18:19], s[4:5], v[14:15]
	v_fma_f64 v[14:15], v[18:19], s[14:15], v[14:15]
	v_add_f64 v[12:13], v[12:13], v[172:173]
	v_fma_f64 v[16:17], v[22:23], s[8:9], v[16:17]
	v_fma_f64 v[14:15], v[22:23], s[6:7], v[14:15]
	;; [unrolled: 3-line block ×3, first 2 shown]
	v_add_f64 v[14:15], v[168:169], v[174:175]
	v_add_f64 v[28:29], v[170:171], -v[168:169]
	v_fma_f64 v[14:15], v[14:15], -0.5, v[24:25]
	v_add_f64 v[30:31], v[28:29], v[30:31]
	v_fma_f64 v[24:25], v[22:23], s[14:15], v[14:15]
	v_fma_f64 v[14:15], v[22:23], s[4:5], v[14:15]
	;; [unrolled: 1-line block ×4, first 2 shown]
	v_add_f64 v[18:19], v[120:121], v[122:123]
	v_fma_f64 v[28:29], v[30:31], s[2:3], v[24:25]
	v_fma_f64 v[24:25], v[30:31], s[2:3], v[14:15]
	v_fma_f64 v[18:19], v[18:19], -0.5, v[26:27]
	v_add_f64 v[30:31], v[118:119], -v[120:121]
	v_add_f64 v[14:15], v[26:27], v[118:119]
	v_fma_f64 v[22:23], v[36:37], s[14:15], v[18:19]
	v_fma_f64 v[18:19], v[36:37], s[4:5], v[18:19]
	v_add_f64 v[30:31], v[30:31], v[40:41]
	v_add_f64 v[40:41], v[120:121], -v[118:119]
	v_add_f64 v[14:15], v[14:15], v[120:121]
	v_fma_f64 v[22:23], v[38:39], s[6:7], v[22:23]
	v_fma_f64 v[18:19], v[38:39], s[8:9], v[18:19]
	v_add_f64 v[40:41], v[40:41], v[42:43]
	;; [unrolled: 5-line block ×3, first 2 shown]
	v_add_f64 v[14:15], v[14:15], v[124:125]
	v_fma_f64 v[26:27], v[30:31], -0.5, v[26:27]
	v_fma_f64 v[30:31], v[38:39], s[4:5], v[26:27]
	v_fma_f64 v[26:27], v[38:39], s[14:15], v[26:27]
	v_add_f64 v[38:39], v[128:129], v[130:131]
	v_fma_f64 v[30:31], v[36:37], s[6:7], v[30:31]
	v_fma_f64 v[26:27], v[36:37], s[8:9], v[26:27]
	v_fma_f64 v[38:39], v[38:39], -0.5, v[32:33]
	v_add_f64 v[36:37], v[32:33], v[126:127]
	v_fma_f64 v[30:31], v[40:41], s[2:3], v[30:31]
	v_fma_f64 v[26:27], v[40:41], s[2:3], v[26:27]
	v_fma_f64 v[40:41], v[42:43], s[4:5], v[38:39]
	v_fma_f64 v[38:39], v[42:43], s[14:15], v[38:39]
	v_add_f64 v[36:37], v[36:37], v[128:129]
	v_fma_f64 v[40:41], v[46:47], s[8:9], v[40:41]
	v_fma_f64 v[38:39], v[46:47], s[6:7], v[38:39]
	v_add_f64 v[36:37], v[36:37], v[130:131]
	v_fma_f64 v[44:45], v[48:49], s[2:3], v[40:41]
	v_fma_f64 v[40:41], v[48:49], s[2:3], v[38:39]
	v_add_f64 v[38:39], v[126:127], v[132:133]
	v_add_f64 v[48:49], v[128:129], -v[126:127]
	v_add_f64 v[36:37], v[36:37], v[132:133]
	v_fma_f64 v[32:33], v[38:39], -0.5, v[32:33]
	v_add_f64 v[50:51], v[48:49], v[50:51]
	v_fma_f64 v[38:39], v[46:47], s[14:15], v[32:33]
	v_fma_f64 v[32:33], v[46:47], s[4:5], v[32:33]
	;; [unrolled: 1-line block ×4, first 2 shown]
	v_add_f64 v[42:43], v[112:113], v[114:115]
	v_fma_f64 v[48:49], v[50:51], s[2:3], v[38:39]
	v_fma_f64 v[32:33], v[50:51], s[2:3], v[32:33]
	v_fma_f64 v[42:43], v[42:43], -0.5, v[34:35]
	v_add_f64 v[50:51], v[80:81], -v[112:113]
	v_add_f64 v[38:39], v[34:35], v[80:81]
	v_fma_f64 v[46:47], v[52:53], s[14:15], v[42:43]
	v_fma_f64 v[42:43], v[52:53], s[4:5], v[42:43]
	v_add_f64 v[50:51], v[50:51], v[56:57]
	v_add_f64 v[56:57], v[112:113], -v[80:81]
	v_add_f64 v[38:39], v[38:39], v[112:113]
	v_add_f64 v[112:113], v[68:69], -v[70:71]
	v_fma_f64 v[46:47], v[54:55], s[6:7], v[46:47]
	v_fma_f64 v[42:43], v[54:55], s[8:9], v[42:43]
	v_add_f64 v[56:57], v[56:57], v[60:61]
	v_add_f64 v[60:61], v[76:77], -v[110:111]
	v_add_f64 v[38:39], v[38:39], v[114:115]
	v_add_f64 v[114:115], v[62:63], -v[58:59]
	v_fma_f64 v[46:47], v[50:51], s[2:3], v[46:47]
	v_fma_f64 v[42:43], v[50:51], s[2:3], v[42:43]
	v_add_f64 v[50:51], v[80:81], v[134:135]
	v_add_f64 v[80:81], v[66:67], -v[72:73]
	v_add_f64 v[64:65], v[60:61], v[64:65]
	v_add_f64 v[38:39], v[38:39], v[134:135]
	v_fma_f64 v[34:35], v[50:51], -0.5, v[34:35]
	v_fma_f64 v[50:51], v[54:55], s[4:5], v[34:35]
	v_fma_f64 v[34:35], v[54:55], s[14:15], v[34:35]
	v_add_f64 v[54:55], v[110:111], v[62:63]
	v_fma_f64 v[50:51], v[52:53], s[6:7], v[50:51]
	v_fma_f64 v[34:35], v[52:53], s[8:9], v[34:35]
	v_fma_f64 v[54:55], v[54:55], -0.5, v[8:9]
	v_add_f64 v[52:53], v[8:9], v[76:77]
	v_fma_f64 v[50:51], v[56:57], s[2:3], v[50:51]
	v_fma_f64 v[34:35], v[56:57], s[2:3], v[34:35]
	;; [unrolled: 1-line block ×4, first 2 shown]
	v_add_f64 v[52:53], v[52:53], v[110:111]
	v_fma_f64 v[56:57], v[112:113], s[8:9], v[56:57]
	v_fma_f64 v[54:55], v[112:113], s[6:7], v[54:55]
	v_add_f64 v[52:53], v[52:53], v[62:63]
	v_fma_f64 v[60:61], v[64:65], s[2:3], v[56:57]
	v_fma_f64 v[56:57], v[64:65], s[2:3], v[54:55]
	v_add_f64 v[54:55], v[76:77], v[58:59]
	v_add_f64 v[64:65], v[110:111], -v[76:77]
	v_add_f64 v[76:77], v[76:77], -v[58:59]
	v_add_f64 v[52:53], v[52:53], v[58:59]
	v_add_f64 v[110:111], v[110:111], -v[62:63]
	v_add_f64 v[62:63], v[66:67], -v[68:69]
	v_fma_f64 v[8:9], v[54:55], -0.5, v[8:9]
	v_add_f64 v[114:115], v[64:65], v[114:115]
	v_fma_f64 v[54:55], v[112:113], s[14:15], v[8:9]
	v_fma_f64 v[8:9], v[112:113], s[4:5], v[8:9]
	v_add_f64 v[112:113], v[72:73], -v[70:71]
	v_fma_f64 v[54:55], v[80:81], s[8:9], v[54:55]
	v_fma_f64 v[8:9], v[80:81], s[6:7], v[8:9]
	v_add_f64 v[80:81], v[68:69], v[70:71]
	v_add_f64 v[112:113], v[62:63], v[112:113]
	v_fma_f64 v[64:65], v[114:115], s[2:3], v[54:55]
	v_add_f64 v[54:55], v[10:11], v[66:67]
	v_fma_f64 v[80:81], v[80:81], -0.5, v[10:11]
	v_fma_f64 v[8:9], v[114:115], s[2:3], v[8:9]
	v_add_f64 v[114:115], v[106:107], -v[108:109]
	v_add_f64 v[54:55], v[54:55], v[68:69]
	v_fma_f64 v[58:59], v[76:77], s[14:15], v[80:81]
	v_add_f64 v[54:55], v[54:55], v[70:71]
	v_fma_f64 v[58:59], v[110:111], s[6:7], v[58:59]
	;; [unrolled: 2-line block ×3, first 2 shown]
	v_fma_f64 v[58:59], v[76:77], s[4:5], v[80:81]
	v_add_f64 v[80:81], v[66:67], v[72:73]
	v_add_f64 v[66:67], v[68:69], -v[66:67]
	v_add_f64 v[68:69], v[70:71], -v[72:73]
	v_add_f64 v[70:71], v[78:79], v[106:107]
	v_fma_f64 v[58:59], v[110:111], s[8:9], v[58:59]
	v_fma_f64 v[10:11], v[80:81], -0.5, v[10:11]
	v_add_f64 v[68:69], v[66:67], v[68:69]
	v_fma_f64 v[70:71], v[70:71], -0.5, v[4:5]
	v_fma_f64 v[58:59], v[112:113], s[2:3], v[58:59]
	v_fma_f64 v[80:81], v[110:111], s[4:5], v[10:11]
	;; [unrolled: 1-line block ×3, first 2 shown]
	v_add_f64 v[110:111], v[82:83], -v[104:105]
	v_add_f64 v[112:113], v[98:99], -v[102:103]
	v_fma_f64 v[80:81], v[76:77], s[6:7], v[80:81]
	v_fma_f64 v[10:11], v[76:77], s[8:9], v[10:11]
	;; [unrolled: 1-line block ×3, first 2 shown]
	v_add_f64 v[76:77], v[74:75], -v[78:79]
	v_fma_f64 v[70:71], v[110:111], s[14:15], v[70:71]
	v_fma_f64 v[66:67], v[68:69], s[2:3], v[80:81]
	v_add_f64 v[80:81], v[108:109], -v[106:107]
	v_fma_f64 v[72:73], v[112:113], s[8:9], v[72:73]
	v_fma_f64 v[10:11], v[68:69], s[2:3], v[10:11]
	;; [unrolled: 1-line block ×3, first 2 shown]
	v_add_f64 v[68:69], v[4:5], v[74:75]
	v_add_f64 v[80:81], v[76:77], v[80:81]
	;; [unrolled: 1-line block ×3, first 2 shown]
	v_fma_f64 v[76:77], v[80:81], s[2:3], v[72:73]
	v_fma_f64 v[72:73], v[80:81], s[2:3], v[70:71]
	v_add_f64 v[70:71], v[74:75], v[108:109]
	v_add_f64 v[80:81], v[78:79], -v[74:75]
	v_add_f64 v[68:69], v[68:69], v[106:107]
	v_add_f64 v[106:107], v[78:79], -v[106:107]
	v_add_f64 v[78:79], v[82:83], -v[98:99]
	v_fma_f64 v[4:5], v[70:71], -0.5, v[4:5]
	v_add_f64 v[114:115], v[80:81], v[114:115]
	v_add_f64 v[68:69], v[68:69], v[108:109]
	v_add_f64 v[108:109], v[74:75], -v[108:109]
	v_fma_f64 v[70:71], v[112:113], s[14:15], v[4:5]
	v_fma_f64 v[4:5], v[112:113], s[4:5], v[4:5]
	v_add_f64 v[112:113], v[104:105], -v[102:103]
	v_fma_f64 v[70:71], v[110:111], s[8:9], v[70:71]
	v_fma_f64 v[4:5], v[110:111], s[6:7], v[4:5]
	v_add_f64 v[110:111], v[98:99], v[102:103]
	v_add_f64 v[112:113], v[78:79], v[112:113]
	v_fma_f64 v[80:81], v[114:115], s[2:3], v[70:71]
	v_add_f64 v[70:71], v[6:7], v[82:83]
	v_fma_f64 v[110:111], v[110:111], -0.5, v[6:7]
	v_fma_f64 v[4:5], v[114:115], s[2:3], v[4:5]
	v_add_f64 v[114:115], v[96:97], -v[100:101]
	v_add_f64 v[70:71], v[70:71], v[98:99]
	v_fma_f64 v[74:75], v[108:109], s[14:15], v[110:111]
	v_add_f64 v[70:71], v[70:71], v[102:103]
	v_fma_f64 v[74:75], v[106:107], s[6:7], v[74:75]
	;; [unrolled: 2-line block ×3, first 2 shown]
	v_fma_f64 v[74:75], v[108:109], s[4:5], v[110:111]
	v_add_f64 v[110:111], v[82:83], v[104:105]
	v_add_f64 v[82:83], v[98:99], -v[82:83]
	v_add_f64 v[98:99], v[102:103], -v[104:105]
	v_fma_f64 v[74:75], v[106:107], s[8:9], v[74:75]
	v_fma_f64 v[6:7], v[110:111], -0.5, v[6:7]
	v_add_f64 v[98:99], v[82:83], v[98:99]
	v_fma_f64 v[74:75], v[112:113], s[2:3], v[74:75]
	v_fma_f64 v[110:111], v[106:107], s[4:5], v[6:7]
	;; [unrolled: 1-line block ×3, first 2 shown]
	v_add_f64 v[106:107], v[92:93], -v[94:95]
	v_add_f64 v[112:113], v[100:101], -v[96:97]
	v_fma_f64 v[110:111], v[108:109], s[6:7], v[110:111]
	v_fma_f64 v[6:7], v[108:109], s[8:9], v[6:7]
	v_add_f64 v[108:109], v[84:85], -v[90:91]
	v_add_f64 v[106:107], v[106:107], v[112:113]
	v_add_f64 v[112:113], v[94:95], -v[92:93]
	v_fma_f64 v[82:83], v[98:99], s[2:3], v[110:111]
	v_fma_f64 v[6:7], v[98:99], s[2:3], v[6:7]
	v_add_f64 v[98:99], v[0:1], v[92:93]
	v_add_f64 v[110:111], v[86:87], -v[88:89]
	v_add_f64 v[112:113], v[112:113], v[114:115]
	v_add_f64 v[98:99], v[98:99], v[94:95]
	;; [unrolled: 1-line block ×5, first 2 shown]
	v_add_f64 v[94:95], v[94:95], -v[96:97]
	v_fma_f64 v[104:105], v[98:99], -0.5, v[0:1]
	v_fma_f64 v[98:99], v[108:109], s[4:5], v[104:105]
	v_fma_f64 v[104:105], v[108:109], s[14:15], v[104:105]
	;; [unrolled: 1-line block ×6, first 2 shown]
	v_add_f64 v[104:105], v[92:93], v[100:101]
	v_add_f64 v[92:93], v[92:93], -v[100:101]
	v_fma_f64 v[104:105], v[104:105], -0.5, v[0:1]
	v_fma_f64 v[0:1], v[110:111], s[14:15], v[104:105]
	v_fma_f64 v[104:105], v[110:111], s[4:5], v[104:105]
	;; [unrolled: 1-line block ×4, first 2 shown]
	v_add_f64 v[108:109], v[86:87], v[88:89]
	v_fma_f64 v[0:1], v[112:113], s[2:3], v[0:1]
	v_fma_f64 v[110:111], v[112:113], s[2:3], v[104:105]
	v_fma_f64 v[108:109], v[108:109], -0.5, v[2:3]
	v_add_f64 v[112:113], v[90:91], -v[88:89]
	v_add_f64 v[104:105], v[2:3], v[84:85]
	v_fma_f64 v[100:101], v[92:93], s[14:15], v[108:109]
	v_add_f64 v[104:105], v[104:105], v[86:87]
	v_fma_f64 v[96:97], v[94:95], s[6:7], v[100:101]
	v_add_f64 v[100:101], v[84:85], -v[86:87]
	v_add_f64 v[104:105], v[104:105], v[88:89]
	v_add_f64 v[112:113], v[100:101], v[112:113]
	v_add_f64 v[104:105], v[104:105], v[90:91]
	v_fma_f64 v[100:101], v[112:113], s[2:3], v[96:97]
	v_fma_f64 v[96:97], v[92:93], s[4:5], v[108:109]
	;; [unrolled: 1-line block ×4, first 2 shown]
	v_add_f64 v[96:97], v[84:85], v[90:91]
	v_add_f64 v[84:85], v[86:87], -v[84:85]
	v_add_f64 v[86:87], v[88:89], -v[90:91]
	v_fma_f64 v[96:97], v[96:97], -0.5, v[2:3]
	v_add_f64 v[84:85], v[84:85], v[86:87]
	v_fma_f64 v[2:3], v[94:95], s[4:5], v[96:97]
	v_fma_f64 v[86:87], v[94:95], s[14:15], v[96:97]
	;; [unrolled: 1-line block ×6, first 2 shown]
	v_mul_u32_u24_e32 v84, 0x7d, v137
	v_add_lshl_u32 v138, v84, v138, 4
	ds_write_b128 v138, v[12:15]
	ds_write_b128 v138, v[20:23] offset:400
	ds_write_b128 v138, v[28:31] offset:800
	;; [unrolled: 1-line block ×4, first 2 shown]
	v_mul_u32_u24_e32 v12, 0x7d, v156
	v_add_lshl_u32 v12, v12, v157, 4
	buffer_store_dword v12, off, s[24:27], 0 offset:1212 ; 4-byte Folded Spill
	ds_write_b128 v12, v[36:39]
	ds_write_b128 v12, v[44:47] offset:400
	ds_write_b128 v12, v[48:51] offset:800
	ds_write_b128 v12, v[32:35] offset:1200
	ds_write_b128 v12, v[40:43] offset:1600
	v_mad_legacy_u16 v12, v158, s17, v159
	v_lshlrev_b32_e32 v12, 4, v12
	buffer_store_dword v12, off, s[24:27], 0 offset:1160 ; 4-byte Folded Spill
	ds_write_b128 v12, v[52:55]
	ds_write_b128 v12, v[60:63] offset:400
	ds_write_b128 v12, v[64:67] offset:800
	ds_write_b128 v12, v[8:11] offset:1200
	ds_write_b128 v12, v[56:59] offset:1600
	v_mad_legacy_u16 v8, v160, s17, v161
	v_lshlrev_b32_e32 v8, 4, v8
	buffer_store_dword v8, off, s[24:27], 0 offset:920 ; 4-byte Folded Spill
	ds_write_b128 v8, v[68:71]
	ds_write_b128 v8, v[76:79] offset:400
	ds_write_b128 v8, v[80:83] offset:800
	ds_write_b128 v8, v[4:7] offset:1200
	ds_write_b128 v8, v[72:75] offset:1600
	v_mad_legacy_u16 v4, v162, s17, v163
	v_lshlrev_b32_e32 v4, 4, v4
	buffer_store_dword v4, off, s[24:27], 0 offset:692 ; 4-byte Folded Spill
	ds_write_b128 v4, v[102:105]
	ds_write_b128 v4, v[98:101] offset:400
	ds_write_b128 v4, v[0:3] offset:800
	ds_write_b128 v4, v[110:113] offset:1200
	ds_write_b128 v4, v[106:109] offset:1600
	v_lshlrev_b32_e32 v100, 6, v176
	s_waitcnt vmcnt(0) lgkmcnt(0)
	s_barrier
	ds_read_b128 v[24:27], v116
	ds_read_b128 v[52:55], v116 offset:10000
	ds_read_b128 v[56:59], v116 offset:20000
	;; [unrolled: 1-line block ×24, first 2 shown]
	global_load_dwordx4 v[160:163], v100, s[10:11] offset:1968
	global_load_dwordx4 v[176:179], v100, s[10:11] offset:1952
	;; [unrolled: 1-line block ×4, first 2 shown]
	v_add_co_u32_e32 v118, vcc, s10, v100
	s_movk_i32 s11, 0x625
	v_addc_co_u32_e32 v119, vcc, 0, v136, vcc
	s_waitcnt vmcnt(0) lgkmcnt(14)
	v_mul_f64 v[100:101], v[54:55], v[202:203]
	v_fma_f64 v[123:124], v[52:53], v[200:201], -v[100:101]
	v_mul_f64 v[52:53], v[52:53], v[202:203]
	v_fma_f64 v[125:126], v[54:55], v[200:201], v[52:53]
	v_mul_f64 v[52:53], v[58:59], v[190:191]
	v_mul_f64 v[54:55], v[74:75], v[190:191]
	v_fma_f64 v[127:128], v[56:57], v[188:189], -v[52:53]
	v_mul_f64 v[52:53], v[56:57], v[190:191]
	v_mul_f64 v[56:57], v[78:79], v[178:179]
	v_fma_f64 v[110:111], v[72:73], v[188:189], -v[54:55]
	v_mul_f64 v[54:55], v[72:73], v[190:191]
	v_fma_f64 v[129:130], v[58:59], v[188:189], v[52:53]
	v_mul_f64 v[52:53], v[62:63], v[178:179]
	v_mul_f64 v[58:59], v[82:83], v[162:163]
	v_fma_f64 v[112:113], v[76:77], v[176:177], -v[56:57]
	v_mul_f64 v[56:57], v[76:77], v[178:179]
	v_fma_f64 v[54:55], v[74:75], v[188:189], v[54:55]
	v_fma_f64 v[131:132], v[60:61], v[176:177], -v[52:53]
	v_mul_f64 v[52:53], v[60:61], v[178:179]
	v_fma_f64 v[114:115], v[80:81], v[160:161], -v[58:59]
	v_mul_f64 v[58:59], v[80:81], v[162:163]
	v_fma_f64 v[56:57], v[78:79], v[176:177], v[56:57]
	v_fma_f64 v[133:134], v[62:63], v[176:177], v[52:53]
	v_mul_f64 v[52:53], v[66:67], v[162:163]
	v_fma_f64 v[60:61], v[82:83], v[160:161], v[58:59]
	v_mul_u32_u24_sdwa v58, v153, s11 dst_sel:DWORD dst_unused:UNUSED_PAD src0_sel:WORD_0 src1_sel:DWORD
	v_sub_u16_sdwa v59, v153, v58 dst_sel:DWORD dst_unused:UNUSED_PAD src0_sel:DWORD src1_sel:WORD_1
	v_lshrrev_b16_e32 v59, 1, v59
	v_add_u16_sdwa v58, v59, v58 dst_sel:DWORD dst_unused:UNUSED_PAD src0_sel:DWORD src1_sel:WORD_1
	v_lshrrev_b16_e32 v58, 6, v58
	v_mul_lo_u16_e32 v58, 0x7d, v58
	v_fma_f64 v[156:157], v[64:65], v[160:161], -v[52:53]
	v_mul_f64 v[52:53], v[64:65], v[162:163]
	v_sub_u16_e32 v120, v153, v58
	v_lshlrev_b16_e32 v58, 6, v120
	v_add_co_u32_e32 v58, vcc, s10, v58
	v_addc_co_u32_e32 v59, vcc, 0, v136, vcc
	v_fma_f64 v[158:159], v[66:67], v[160:161], v[52:53]
	v_mul_f64 v[52:53], v[70:71], v[202:203]
	v_fma_f64 v[64:65], v[68:69], v[200:201], -v[52:53]
	v_mul_f64 v[52:53], v[68:69], v[202:203]
	v_fma_f64 v[52:53], v[70:71], v[200:201], v[52:53]
	global_load_dwordx4 v[72:75], v[58:59], off offset:1968
	global_load_dwordx4 v[76:79], v[58:59], off offset:1952
	;; [unrolled: 1-line block ×4, first 2 shown]
	s_waitcnt vmcnt(0) lgkmcnt(13)
	v_mul_f64 v[58:59], v[86:87], v[82:83]
	v_fma_f64 v[58:59], v[84:85], v[80:81], -v[58:59]
	buffer_store_dword v80, off, s[24:27], 0 offset:760 ; 4-byte Folded Spill
	s_nop 0
	buffer_store_dword v81, off, s[24:27], 0 offset:764 ; 4-byte Folded Spill
	buffer_store_dword v82, off, s[24:27], 0 offset:768 ; 4-byte Folded Spill
	;; [unrolled: 1-line block ×3, first 2 shown]
	v_mul_f64 v[62:63], v[84:85], v[82:83]
	v_fma_f64 v[66:67], v[86:87], v[80:81], v[62:63]
	v_mov_b32_e32 v83, v71
	v_mov_b32_e32 v82, v70
	v_mov_b32_e32 v81, v69
	v_mov_b32_e32 v80, v68
	buffer_store_dword v80, off, s[24:27], 0 offset:776 ; 4-byte Folded Spill
	s_nop 0
	buffer_store_dword v81, off, s[24:27], 0 offset:780 ; 4-byte Folded Spill
	buffer_store_dword v82, off, s[24:27], 0 offset:784 ; 4-byte Folded Spill
	;; [unrolled: 1-line block ×3, first 2 shown]
	s_waitcnt lgkmcnt(12)
	v_mul_f64 v[62:63], v[90:91], v[82:83]
	v_mul_f64 v[68:69], v[88:89], v[82:83]
	v_mov_b32_e32 v85, v75
	v_mov_b32_e32 v84, v74
	;; [unrolled: 1-line block ×4, first 2 shown]
	v_mul_u32_u24_sdwa v74, v154, s11 dst_sel:DWORD dst_unused:UNUSED_PAD src0_sel:WORD_0 src1_sel:DWORD
	v_sub_u16_sdwa v75, v154, v74 dst_sel:DWORD dst_unused:UNUSED_PAD src0_sel:DWORD src1_sel:WORD_1
	v_fma_f64 v[62:63], v[88:89], v[80:81], -v[62:63]
	v_fma_f64 v[68:69], v[90:91], v[80:81], v[68:69]
	v_mov_b32_e32 v81, v79
	v_mov_b32_e32 v80, v78
	;; [unrolled: 1-line block ×4, first 2 shown]
	buffer_store_dword v78, off, s[24:27], 0 offset:792 ; 4-byte Folded Spill
	s_nop 0
	buffer_store_dword v79, off, s[24:27], 0 offset:796 ; 4-byte Folded Spill
	buffer_store_dword v80, off, s[24:27], 0 offset:800 ; 4-byte Folded Spill
	;; [unrolled: 1-line block ×4, first 2 shown]
	s_nop 0
	buffer_store_dword v83, off, s[24:27], 0 offset:812 ; 4-byte Folded Spill
	buffer_store_dword v84, off, s[24:27], 0 offset:816 ; 4-byte Folded Spill
	;; [unrolled: 1-line block ×3, first 2 shown]
	v_lshrrev_b16_e32 v75, 1, v75
	v_add_u16_sdwa v74, v75, v74 dst_sel:DWORD dst_unused:UNUSED_PAD src0_sel:DWORD src1_sel:WORD_1
	v_lshrrev_b16_e32 v74, 6, v74
	v_mul_lo_u16_e32 v74, 0x7d, v74
	v_sub_u16_e32 v121, v154, v74
	v_lshlrev_b16_e32 v74, 6, v121
	v_add_co_u32_e32 v74, vcc, s10, v74
	v_addc_co_u32_e32 v75, vcc, 0, v136, vcc
	s_waitcnt lgkmcnt(11)
	v_mul_f64 v[70:71], v[94:95], v[80:81]
	s_waitcnt lgkmcnt(10)
	v_mul_f64 v[72:73], v[98:99], v[84:85]
	v_fma_f64 v[76:77], v[92:93], v[78:79], -v[70:71]
	v_mul_f64 v[70:71], v[92:93], v[80:81]
	v_fma_f64 v[80:81], v[96:97], v[82:83], -v[72:73]
	v_mul_f64 v[72:73], v[96:97], v[84:85]
	v_fma_f64 v[70:71], v[94:95], v[78:79], v[70:71]
	v_fma_f64 v[72:73], v[98:99], v[82:83], v[72:73]
	global_load_dwordx4 v[84:87], v[74:75], off offset:1968
	global_load_dwordx4 v[88:91], v[74:75], off offset:1952
	;; [unrolled: 1-line block ×4, first 2 shown]
	s_waitcnt vmcnt(0) lgkmcnt(8)
	v_mul_f64 v[74:75], v[50:51], v[98:99]
	v_fma_f64 v[74:75], v[48:49], v[96:97], -v[74:75]
	buffer_store_dword v96, off, s[24:27], 0 offset:924 ; 4-byte Folded Spill
	s_nop 0
	buffer_store_dword v97, off, s[24:27], 0 offset:928 ; 4-byte Folded Spill
	buffer_store_dword v98, off, s[24:27], 0 offset:932 ; 4-byte Folded Spill
	buffer_store_dword v99, off, s[24:27], 0 offset:936 ; 4-byte Folded Spill
	buffer_store_dword v92, off, s[24:27], 0 offset:972 ; 4-byte Folded Spill
	s_nop 0
	buffer_store_dword v93, off, s[24:27], 0 offset:976 ; 4-byte Folded Spill
	buffer_store_dword v94, off, s[24:27], 0 offset:980 ; 4-byte Folded Spill
	buffer_store_dword v95, off, s[24:27], 0 offset:984 ; 4-byte Folded Spill
	;; [unrolled: 5-line block ×4, first 2 shown]
	v_mul_f64 v[48:49], v[48:49], v[98:99]
	v_fma_f64 v[82:83], v[50:51], v[96:97], v[48:49]
	s_waitcnt lgkmcnt(7)
	v_mul_f64 v[48:49], v[46:47], v[94:95]
	v_add_f64 v[50:51], v[112:113], -v[114:115]
	v_fma_f64 v[78:79], v[44:45], v[92:93], -v[48:49]
	v_mul_f64 v[44:45], v[44:45], v[94:95]
	v_fma_f64 v[98:99], v[46:47], v[92:93], v[44:45]
	s_waitcnt lgkmcnt(6)
	v_mul_f64 v[44:45], v[42:43], v[90:91]
	v_fma_f64 v[106:107], v[40:41], v[88:89], -v[44:45]
	v_mul_f64 v[40:41], v[40:41], v[90:91]
	v_fma_f64 v[102:103], v[42:43], v[88:89], v[40:41]
	s_waitcnt lgkmcnt(5)
	v_mul_f64 v[40:41], v[38:39], v[86:87]
	v_fma_f64 v[108:109], v[36:37], v[84:85], -v[40:41]
	v_mul_f64 v[36:37], v[36:37], v[86:87]
	v_fma_f64 v[104:105], v[38:39], v[84:85], v[36:37]
	v_mul_u32_u24_sdwa v36, v155, s11 dst_sel:DWORD dst_unused:UNUSED_PAD src0_sel:WORD_0 src1_sel:DWORD
	v_sub_u16_sdwa v37, v155, v36 dst_sel:DWORD dst_unused:UNUSED_PAD src0_sel:DWORD src1_sel:WORD_1
	v_lshrrev_b16_e32 v37, 1, v37
	v_add_u16_sdwa v36, v37, v36 dst_sel:DWORD dst_unused:UNUSED_PAD src0_sel:DWORD src1_sel:WORD_1
	v_lshrrev_b16_e32 v36, 6, v36
	v_mul_lo_u16_e32 v36, 0x7d, v36
	v_sub_u16_e32 v122, v155, v36
	v_lshlrev_b16_e32 v36, 6, v122
	v_add_co_u32_e32 v36, vcc, s10, v36
	v_addc_co_u32_e32 v37, vcc, 0, v136, vcc
	global_load_dwordx4 v[38:41], v[36:37], off offset:1968
	global_load_dwordx4 v[42:45], v[36:37], off offset:1952
	;; [unrolled: 1-line block ×4, first 2 shown]
	s_movk_i32 s11, 0x26c0
	s_waitcnt vmcnt(0) lgkmcnt(3)
	v_mul_f64 v[36:37], v[30:31], v[86:87]
	v_fma_f64 v[92:93], v[28:29], v[84:85], -v[36:37]
	buffer_store_dword v84, off, s[24:27], 0 offset:1052 ; 4-byte Folded Spill
	s_nop 0
	buffer_store_dword v85, off, s[24:27], 0 offset:1056 ; 4-byte Folded Spill
	buffer_store_dword v86, off, s[24:27], 0 offset:1060 ; 4-byte Folded Spill
	buffer_store_dword v87, off, s[24:27], 0 offset:1064 ; 4-byte Folded Spill
	buffer_store_dword v46, off, s[24:27], 0 offset:1100 ; 4-byte Folded Spill
	s_nop 0
	buffer_store_dword v47, off, s[24:27], 0 offset:1104 ; 4-byte Folded Spill
	buffer_store_dword v48, off, s[24:27], 0 offset:1108 ; 4-byte Folded Spill
	buffer_store_dword v49, off, s[24:27], 0 offset:1112 ; 4-byte Folded Spill
	;; [unrolled: 5-line block ×4, first 2 shown]
	v_add_f64 v[36:37], v[123:124], -v[156:157]
	s_waitcnt vmcnt(0) lgkmcnt(0)
	s_barrier
	v_mul_f64 v[28:29], v[28:29], v[86:87]
	v_fma_f64 v[84:85], v[30:31], v[84:85], v[28:29]
	v_mul_f64 v[28:29], v[22:23], v[48:49]
	v_add_f64 v[30:31], v[131:132], -v[156:157]
	v_fma_f64 v[94:95], v[20:21], v[46:47], -v[28:29]
	v_mul_f64 v[20:21], v[20:21], v[48:49]
	v_add_f64 v[28:29], v[156:157], -v[131:132]
	v_add_f64 v[48:49], v[114:115], -v[112:113]
	v_fma_f64 v[86:87], v[22:23], v[46:47], v[20:21]
	v_mul_f64 v[20:21], v[18:19], v[44:45]
	v_add_f64 v[22:23], v[129:130], -v[133:134]
	v_add_f64 v[46:47], v[54:55], -v[56:57]
	v_fma_f64 v[96:97], v[16:17], v[42:43], -v[20:21]
	v_mul_f64 v[16:17], v[16:17], v[44:45]
	v_add_f64 v[20:21], v[123:124], -v[127:128]
	v_add_f64 v[44:45], v[64:65], -v[110:111]
	v_fma_f64 v[88:89], v[18:19], v[42:43], v[16:17]
	v_mul_f64 v[16:17], v[14:15], v[40:41]
	v_add_f64 v[18:19], v[125:126], -v[158:159]
	v_add_f64 v[28:29], v[20:21], v[28:29]
	v_add_f64 v[42:43], v[133:134], -v[158:159]
	v_add_f64 v[48:49], v[44:45], v[48:49]
	v_fma_f64 v[100:101], v[12:13], v[38:39], -v[16:17]
	v_mul_f64 v[12:13], v[12:13], v[40:41]
	v_add_f64 v[40:41], v[158:159], -v[133:134]
	v_fma_f64 v[90:91], v[14:15], v[38:39], v[12:13]
	v_add_f64 v[14:15], v[127:128], v[131:132]
	v_add_f64 v[12:13], v[24:25], v[123:124]
	v_add_f64 v[38:39], v[127:128], -v[131:132]
	v_fma_f64 v[14:15], v[14:15], -0.5, v[24:25]
	v_add_f64 v[12:13], v[12:13], v[127:128]
	v_fma_f64 v[16:17], v[18:19], s[4:5], v[14:15]
	v_fma_f64 v[14:15], v[18:19], s[14:15], v[14:15]
	v_add_f64 v[12:13], v[12:13], v[131:132]
	v_fma_f64 v[16:17], v[22:23], s[8:9], v[16:17]
	v_fma_f64 v[14:15], v[22:23], s[6:7], v[14:15]
	;; [unrolled: 3-line block ×3, first 2 shown]
	v_add_f64 v[14:15], v[123:124], v[156:157]
	v_add_f64 v[28:29], v[127:128], -v[123:124]
	v_fma_f64 v[14:15], v[14:15], -0.5, v[24:25]
	v_add_f64 v[30:31], v[28:29], v[30:31]
	v_fma_f64 v[24:25], v[22:23], s[14:15], v[14:15]
	v_fma_f64 v[14:15], v[22:23], s[4:5], v[14:15]
	;; [unrolled: 1-line block ×4, first 2 shown]
	v_add_f64 v[18:19], v[129:130], v[133:134]
	v_fma_f64 v[28:29], v[30:31], s[2:3], v[24:25]
	v_fma_f64 v[24:25], v[30:31], s[2:3], v[14:15]
	v_fma_f64 v[18:19], v[18:19], -0.5, v[26:27]
	v_add_f64 v[30:31], v[125:126], -v[129:130]
	v_add_f64 v[14:15], v[26:27], v[125:126]
	v_fma_f64 v[22:23], v[36:37], s[14:15], v[18:19]
	v_fma_f64 v[18:19], v[36:37], s[4:5], v[18:19]
	v_add_f64 v[30:31], v[30:31], v[40:41]
	v_add_f64 v[40:41], v[129:130], -v[125:126]
	v_add_f64 v[14:15], v[14:15], v[129:130]
	v_fma_f64 v[22:23], v[38:39], s[6:7], v[22:23]
	v_fma_f64 v[18:19], v[38:39], s[8:9], v[18:19]
	v_add_f64 v[40:41], v[40:41], v[42:43]
	;; [unrolled: 5-line block ×3, first 2 shown]
	v_add_f64 v[14:15], v[14:15], v[158:159]
	v_fma_f64 v[26:27], v[30:31], -0.5, v[26:27]
	v_fma_f64 v[30:31], v[38:39], s[4:5], v[26:27]
	v_fma_f64 v[26:27], v[38:39], s[14:15], v[26:27]
	v_add_f64 v[38:39], v[110:111], v[112:113]
	v_fma_f64 v[30:31], v[36:37], s[6:7], v[30:31]
	v_fma_f64 v[26:27], v[36:37], s[8:9], v[26:27]
	v_fma_f64 v[38:39], v[38:39], -0.5, v[32:33]
	v_add_f64 v[36:37], v[32:33], v[64:65]
	v_fma_f64 v[30:31], v[40:41], s[2:3], v[30:31]
	v_fma_f64 v[26:27], v[40:41], s[2:3], v[26:27]
	;; [unrolled: 1-line block ×4, first 2 shown]
	v_add_f64 v[36:37], v[36:37], v[110:111]
	v_fma_f64 v[40:41], v[46:47], s[8:9], v[40:41]
	v_fma_f64 v[38:39], v[46:47], s[6:7], v[38:39]
	v_add_f64 v[36:37], v[36:37], v[112:113]
	v_fma_f64 v[44:45], v[48:49], s[2:3], v[40:41]
	v_fma_f64 v[40:41], v[48:49], s[2:3], v[38:39]
	v_add_f64 v[38:39], v[64:65], v[114:115]
	v_add_f64 v[48:49], v[110:111], -v[64:65]
	v_add_f64 v[64:65], v[64:65], -v[114:115]
	;; [unrolled: 1-line block ×4, first 2 shown]
	v_add_f64 v[36:37], v[36:37], v[114:115]
	v_add_f64 v[114:115], v[76:77], -v[80:81]
	v_fma_f64 v[32:33], v[38:39], -0.5, v[32:33]
	v_add_f64 v[50:51], v[48:49], v[50:51]
	v_fma_f64 v[38:39], v[46:47], s[14:15], v[32:33]
	v_fma_f64 v[32:33], v[46:47], s[4:5], v[32:33]
	;; [unrolled: 1-line block ×4, first 2 shown]
	v_add_f64 v[42:43], v[54:55], v[56:57]
	v_fma_f64 v[48:49], v[50:51], s[2:3], v[38:39]
	v_fma_f64 v[32:33], v[50:51], s[2:3], v[32:33]
	v_fma_f64 v[42:43], v[42:43], -0.5, v[34:35]
	v_add_f64 v[50:51], v[52:53], -v[54:55]
	v_add_f64 v[38:39], v[34:35], v[52:53]
	v_fma_f64 v[46:47], v[64:65], s[14:15], v[42:43]
	v_fma_f64 v[42:43], v[64:65], s[4:5], v[42:43]
	v_add_f64 v[50:51], v[50:51], v[112:113]
	v_add_f64 v[38:39], v[38:39], v[54:55]
	v_add_f64 v[112:113], v[68:69], -v[70:71]
	v_fma_f64 v[46:47], v[110:111], s[6:7], v[46:47]
	v_fma_f64 v[42:43], v[110:111], s[8:9], v[42:43]
	v_add_f64 v[38:39], v[38:39], v[56:57]
	v_fma_f64 v[46:47], v[50:51], s[2:3], v[46:47]
	v_fma_f64 v[42:43], v[50:51], s[2:3], v[42:43]
	v_add_f64 v[50:51], v[52:53], v[60:61]
	v_add_f64 v[52:53], v[54:55], -v[52:53]
	v_add_f64 v[54:55], v[56:57], -v[60:61]
	v_add_f64 v[38:39], v[38:39], v[60:61]
	v_add_f64 v[60:61], v[58:59], -v[62:63]
	v_fma_f64 v[34:35], v[50:51], -0.5, v[34:35]
	v_add_f64 v[52:53], v[52:53], v[54:55]
	v_add_f64 v[54:55], v[62:63], v[76:77]
	v_fma_f64 v[50:51], v[110:111], s[4:5], v[34:35]
	v_fma_f64 v[34:35], v[110:111], s[14:15], v[34:35]
	v_add_f64 v[110:111], v[66:67], -v[72:73]
	v_fma_f64 v[54:55], v[54:55], -0.5, v[8:9]
	v_fma_f64 v[50:51], v[64:65], s[6:7], v[50:51]
	v_fma_f64 v[34:35], v[64:65], s[8:9], v[34:35]
	v_add_f64 v[64:65], v[80:81], -v[76:77]
	v_fma_f64 v[56:57], v[110:111], s[4:5], v[54:55]
	v_fma_f64 v[54:55], v[110:111], s[14:15], v[54:55]
	v_fma_f64 v[50:51], v[52:53], s[2:3], v[50:51]
	v_fma_f64 v[34:35], v[52:53], s[2:3], v[34:35]
	v_add_f64 v[64:65], v[60:61], v[64:65]
	v_fma_f64 v[56:57], v[112:113], s[8:9], v[56:57]
	v_fma_f64 v[54:55], v[112:113], s[6:7], v[54:55]
	v_add_f64 v[52:53], v[8:9], v[58:59]
	ds_write_b128 v116, v[12:15]
	ds_write_b128 v116, v[20:23] offset:2000
	ds_write_b128 v116, v[28:31] offset:4000
	ds_write_b128 v116, v[24:27] offset:6000
	ds_write_b128 v116, v[16:19] offset:8000
	ds_write_b128 v116, v[36:39] offset:10000
	ds_write_b128 v116, v[44:47] offset:12000
	ds_write_b128 v116, v[48:51] offset:14000
	ds_write_b128 v116, v[32:35] offset:16000
	ds_write_b128 v116, v[40:43] offset:18000
	v_lshlrev_b32_e32 v12, 4, v120
	buffer_store_dword v12, off, s[24:27], 0 offset:1148 ; 4-byte Folded Spill
	v_fma_f64 v[60:61], v[64:65], s[2:3], v[56:57]
	v_fma_f64 v[56:57], v[64:65], s[2:3], v[54:55]
	v_add_f64 v[54:55], v[58:59], v[80:81]
	v_add_f64 v[52:53], v[52:53], v[62:63]
	v_add_f64 v[64:65], v[62:63], -v[58:59]
	v_fma_f64 v[8:9], v[54:55], -0.5, v[8:9]
	v_add_f64 v[52:53], v[52:53], v[76:77]
	v_add_f64 v[76:77], v[62:63], -v[76:77]
	v_add_f64 v[62:63], v[66:67], -v[68:69]
	v_add_f64 v[114:115], v[64:65], v[114:115]
	v_fma_f64 v[54:55], v[112:113], s[14:15], v[8:9]
	v_fma_f64 v[8:9], v[112:113], s[4:5], v[8:9]
	v_add_f64 v[52:53], v[52:53], v[80:81]
	v_add_f64 v[80:81], v[58:59], -v[80:81]
	v_add_f64 v[112:113], v[72:73], -v[70:71]
	v_fma_f64 v[54:55], v[110:111], s[8:9], v[54:55]
	v_fma_f64 v[8:9], v[110:111], s[6:7], v[8:9]
	v_add_f64 v[110:111], v[68:69], v[70:71]
	v_add_f64 v[112:113], v[62:63], v[112:113]
	v_fma_f64 v[64:65], v[114:115], s[2:3], v[54:55]
	v_add_f64 v[54:55], v[10:11], v[66:67]
	v_fma_f64 v[110:111], v[110:111], -0.5, v[10:11]
	v_fma_f64 v[8:9], v[114:115], s[2:3], v[8:9]
	v_add_f64 v[114:115], v[106:107], -v[108:109]
	v_add_f64 v[54:55], v[54:55], v[68:69]
	v_fma_f64 v[58:59], v[80:81], s[14:15], v[110:111]
	v_add_f64 v[54:55], v[54:55], v[70:71]
	v_fma_f64 v[58:59], v[76:77], s[6:7], v[58:59]
	;; [unrolled: 2-line block ×3, first 2 shown]
	v_fma_f64 v[58:59], v[80:81], s[4:5], v[110:111]
	v_add_f64 v[110:111], v[66:67], v[72:73]
	v_add_f64 v[66:67], v[68:69], -v[66:67]
	v_add_f64 v[68:69], v[70:71], -v[72:73]
	v_add_f64 v[70:71], v[78:79], v[106:107]
	v_fma_f64 v[58:59], v[76:77], s[8:9], v[58:59]
	v_fma_f64 v[10:11], v[110:111], -0.5, v[10:11]
	v_add_f64 v[68:69], v[66:67], v[68:69]
	v_fma_f64 v[70:71], v[70:71], -0.5, v[4:5]
	v_fma_f64 v[58:59], v[112:113], s[2:3], v[58:59]
	v_fma_f64 v[110:111], v[76:77], s[4:5], v[10:11]
	;; [unrolled: 1-line block ×3, first 2 shown]
	v_add_f64 v[112:113], v[98:99], -v[102:103]
	v_add_f64 v[76:77], v[74:75], -v[78:79]
	v_fma_f64 v[110:111], v[80:81], s[6:7], v[110:111]
	v_fma_f64 v[10:11], v[80:81], s[8:9], v[10:11]
	v_add_f64 v[80:81], v[108:109], -v[106:107]
	v_fma_f64 v[66:67], v[68:69], s[2:3], v[110:111]
	v_add_f64 v[110:111], v[82:83], -v[104:105]
	v_add_f64 v[80:81], v[76:77], v[80:81]
	v_fma_f64 v[10:11], v[68:69], s[2:3], v[10:11]
	v_add_f64 v[68:69], v[4:5], v[74:75]
	ds_write_b128 v12, v[52:55] offset:20000
	ds_write_b128 v12, v[60:63] offset:22000
	;; [unrolled: 1-line block ×5, first 2 shown]
	v_fma_f64 v[72:73], v[110:111], s[4:5], v[70:71]
	v_fma_f64 v[70:71], v[110:111], s[14:15], v[70:71]
	v_add_co_u32_e32 v64, vcc, s11, v118
	v_add_f64 v[68:69], v[68:69], v[78:79]
	v_lshlrev_b32_e32 v8, 4, v121
	v_addc_co_u32_e32 v65, vcc, 0, v119, vcc
	v_fma_f64 v[72:73], v[112:113], s[8:9], v[72:73]
	v_fma_f64 v[70:71], v[112:113], s[6:7], v[70:71]
	buffer_store_dword v8, off, s[24:27], 0 offset:1152 ; 4-byte Folded Spill
	v_add_f64 v[68:69], v[68:69], v[106:107]
	v_add_f64 v[106:107], v[78:79], -v[106:107]
	v_fma_f64 v[76:77], v[80:81], s[2:3], v[72:73]
	v_fma_f64 v[72:73], v[80:81], s[2:3], v[70:71]
	v_add_f64 v[70:71], v[74:75], v[108:109]
	v_add_f64 v[80:81], v[78:79], -v[74:75]
	v_add_f64 v[68:69], v[68:69], v[108:109]
	v_add_f64 v[108:109], v[74:75], -v[108:109]
	v_add_f64 v[78:79], v[82:83], -v[98:99]
	v_fma_f64 v[4:5], v[70:71], -0.5, v[4:5]
	v_add_f64 v[114:115], v[80:81], v[114:115]
	v_fma_f64 v[70:71], v[112:113], s[14:15], v[4:5]
	v_fma_f64 v[4:5], v[112:113], s[4:5], v[4:5]
	v_add_f64 v[112:113], v[104:105], -v[102:103]
	v_fma_f64 v[70:71], v[110:111], s[8:9], v[70:71]
	v_fma_f64 v[4:5], v[110:111], s[6:7], v[4:5]
	v_add_f64 v[110:111], v[98:99], v[102:103]
	v_add_f64 v[112:113], v[78:79], v[112:113]
	v_fma_f64 v[80:81], v[114:115], s[2:3], v[70:71]
	v_add_f64 v[70:71], v[6:7], v[82:83]
	v_fma_f64 v[110:111], v[110:111], -0.5, v[6:7]
	v_fma_f64 v[4:5], v[114:115], s[2:3], v[4:5]
	v_add_f64 v[114:115], v[96:97], -v[100:101]
	v_add_f64 v[70:71], v[70:71], v[98:99]
	v_fma_f64 v[74:75], v[108:109], s[14:15], v[110:111]
	v_add_f64 v[70:71], v[70:71], v[102:103]
	v_fma_f64 v[74:75], v[106:107], s[6:7], v[74:75]
	;; [unrolled: 2-line block ×3, first 2 shown]
	v_fma_f64 v[74:75], v[108:109], s[4:5], v[110:111]
	v_add_f64 v[110:111], v[82:83], v[104:105]
	v_add_f64 v[82:83], v[98:99], -v[82:83]
	v_add_f64 v[98:99], v[102:103], -v[104:105]
	v_fma_f64 v[74:75], v[106:107], s[8:9], v[74:75]
	v_fma_f64 v[6:7], v[110:111], -0.5, v[6:7]
	v_add_f64 v[98:99], v[82:83], v[98:99]
	v_fma_f64 v[74:75], v[112:113], s[2:3], v[74:75]
	v_fma_f64 v[110:111], v[106:107], s[4:5], v[6:7]
	;; [unrolled: 1-line block ×3, first 2 shown]
	v_add_f64 v[106:107], v[92:93], -v[94:95]
	v_add_f64 v[112:113], v[100:101], -v[96:97]
	v_fma_f64 v[110:111], v[108:109], s[6:7], v[110:111]
	v_fma_f64 v[6:7], v[108:109], s[8:9], v[6:7]
	v_add_f64 v[108:109], v[84:85], -v[90:91]
	v_add_f64 v[106:107], v[106:107], v[112:113]
	v_add_f64 v[112:113], v[94:95], -v[92:93]
	v_fma_f64 v[82:83], v[98:99], s[2:3], v[110:111]
	v_fma_f64 v[6:7], v[98:99], s[2:3], v[6:7]
	v_add_f64 v[98:99], v[0:1], v[92:93]
	v_add_f64 v[110:111], v[86:87], -v[88:89]
	v_add_f64 v[112:113], v[112:113], v[114:115]
	ds_write_b128 v8, v[68:71] offset:30000
	ds_write_b128 v8, v[76:79] offset:32000
	;; [unrolled: 1-line block ×5, first 2 shown]
	v_add_co_u32_e32 v82, vcc, s16, v118
	v_lshlrev_b32_e32 v4, 4, v122
	v_add_f64 v[98:99], v[98:99], v[94:95]
	v_addc_co_u32_e32 v83, vcc, 0, v119, vcc
	buffer_store_dword v4, off, s[24:27], 0 offset:1156 ; 4-byte Folded Spill
	v_add_f64 v[98:99], v[98:99], v[96:97]
	v_add_f64 v[102:103], v[98:99], v[100:101]
	;; [unrolled: 1-line block ×3, first 2 shown]
	v_add_f64 v[94:95], v[94:95], -v[96:97]
	v_fma_f64 v[104:105], v[98:99], -0.5, v[0:1]
	v_fma_f64 v[98:99], v[108:109], s[4:5], v[104:105]
	v_fma_f64 v[104:105], v[108:109], s[14:15], v[104:105]
	;; [unrolled: 1-line block ×6, first 2 shown]
	v_add_f64 v[104:105], v[92:93], v[100:101]
	v_add_f64 v[92:93], v[92:93], -v[100:101]
	v_fma_f64 v[104:105], v[104:105], -0.5, v[0:1]
	v_fma_f64 v[0:1], v[110:111], s[14:15], v[104:105]
	v_fma_f64 v[104:105], v[110:111], s[4:5], v[104:105]
	;; [unrolled: 1-line block ×4, first 2 shown]
	v_add_f64 v[108:109], v[86:87], v[88:89]
	v_fma_f64 v[0:1], v[112:113], s[2:3], v[0:1]
	v_fma_f64 v[110:111], v[112:113], s[2:3], v[104:105]
	v_fma_f64 v[108:109], v[108:109], -0.5, v[2:3]
	v_add_f64 v[112:113], v[90:91], -v[88:89]
	v_add_f64 v[104:105], v[2:3], v[84:85]
	v_fma_f64 v[100:101], v[92:93], s[14:15], v[108:109]
	v_add_f64 v[104:105], v[104:105], v[86:87]
	v_fma_f64 v[96:97], v[94:95], s[6:7], v[100:101]
	v_add_f64 v[100:101], v[84:85], -v[86:87]
	v_add_f64 v[104:105], v[104:105], v[88:89]
	v_add_f64 v[112:113], v[100:101], v[112:113]
	;; [unrolled: 1-line block ×3, first 2 shown]
	v_fma_f64 v[100:101], v[112:113], s[2:3], v[96:97]
	v_fma_f64 v[96:97], v[92:93], s[4:5], v[108:109]
	;; [unrolled: 1-line block ×4, first 2 shown]
	v_add_f64 v[96:97], v[84:85], v[90:91]
	v_add_f64 v[84:85], v[86:87], -v[84:85]
	v_add_f64 v[86:87], v[88:89], -v[90:91]
	v_fma_f64 v[96:97], v[96:97], -0.5, v[2:3]
	v_add_f64 v[84:85], v[84:85], v[86:87]
	v_fma_f64 v[2:3], v[94:95], s[4:5], v[96:97]
	v_fma_f64 v[86:87], v[94:95], s[14:15], v[96:97]
	v_fma_f64 v[2:3], v[92:93], s[6:7], v[2:3]
	v_fma_f64 v[86:87], v[92:93], s[8:9], v[86:87]
	v_fma_f64 v[2:3], v[84:85], s[2:3], v[2:3]
	v_fma_f64 v[112:113], v[84:85], s[2:3], v[86:87]
	ds_write_b128 v4, v[102:105] offset:40000
	ds_write_b128 v4, v[98:101] offset:42000
	;; [unrolled: 1-line block ×5, first 2 shown]
	s_waitcnt vmcnt(0) lgkmcnt(0)
	s_barrier
	ds_read_b128 v[16:19], v116
	ds_read_b128 v[4:7], v116 offset:10000
	ds_read_b128 v[8:11], v116 offset:20000
	;; [unrolled: 1-line block ×24, first 2 shown]
	global_load_dwordx4 v[240:243], v[82:83], off offset:1728
	global_load_dwordx4 v[126:129], v[64:65], off offset:48
	;; [unrolled: 1-line block ×4, first 2 shown]
	s_waitcnt vmcnt(3) lgkmcnt(14)
	v_mul_f64 v[64:65], v[6:7], v[242:243]
	v_fma_f64 v[120:121], v[4:5], v[240:241], -v[64:65]
	v_mul_f64 v[4:5], v[4:5], v[242:243]
	v_fma_f64 v[84:85], v[6:7], v[240:241], v[4:5]
	s_waitcnt vmcnt(0)
	v_mul_f64 v[4:5], v[10:11], v[250:251]
	v_fma_f64 v[124:125], v[8:9], v[248:249], -v[4:5]
	v_mul_f64 v[4:5], v[8:9], v[250:251]
	v_mov_b32_e32 v9, v3
	v_mov_b32_e32 v8, v2
	;; [unrolled: 1-line block ×4, first 2 shown]
	buffer_store_dword v6, off, s[24:27], 0 offset:1196 ; 4-byte Folded Spill
	s_nop 0
	buffer_store_dword v7, off, s[24:27], 0 offset:1200 ; 4-byte Folded Spill
	buffer_store_dword v8, off, s[24:27], 0 offset:1204 ; 4-byte Folded Spill
	;; [unrolled: 1-line block ×3, first 2 shown]
	v_fma_f64 v[86:87], v[10:11], v[248:249], v[4:5]
	v_mul_f64 v[4:5], v[14:15], v[8:9]
	v_mul_f64 v[2:3], v[12:13], v[8:9]
	v_mov_b32_e32 v8, v126
	v_mov_b32_e32 v9, v127
	;; [unrolled: 1-line block ×4, first 2 shown]
	buffer_store_dword v8, off, s[24:27], 0 offset:1180 ; 4-byte Folded Spill
	s_nop 0
	buffer_store_dword v9, off, s[24:27], 0 offset:1184 ; 4-byte Folded Spill
	buffer_store_dword v10, off, s[24:27], 0 offset:1188 ; 4-byte Folded Spill
	;; [unrolled: 1-line block ×3, first 2 shown]
	v_fma_f64 v[0:1], v[12:13], v[6:7], -v[4:5]
	v_fma_f64 v[6:7], v[14:15], v[6:7], v[2:3]
	v_mul_f64 v[2:3], v[72:73], v[10:11]
	v_fma_f64 v[128:129], v[70:71], v[8:9], -v[2:3]
	v_mul_f64 v[2:3], v[70:71], v[10:11]
	v_fma_f64 v[4:5], v[72:73], v[8:9], v[2:3]
	v_lshlrev_b32_e32 v2, 6, v152
	v_add_co_u32_e32 v8, vcc, s10, v2
	v_addc_co_u32_e32 v9, vcc, 0, v136, vcc
	v_add_co_u32_e32 v2, vcc, s11, v8
	v_addc_co_u32_e32 v3, vcc, 0, v9, vcc
	;; [unrolled: 2-line block ×3, first 2 shown]
	global_load_dwordx4 v[224:227], v[8:9], off offset:1728
	global_load_dwordx4 v[244:247], v[2:3], off offset:48
	;; [unrolled: 1-line block ×4, first 2 shown]
	s_waitcnt vmcnt(3)
	v_mul_f64 v[2:3], v[76:77], v[226:227]
	s_waitcnt vmcnt(2)
	v_mul_f64 v[70:71], v[100:101], v[246:247]
	;; [unrolled: 2-line block ×3, first 2 shown]
	v_mul_f64 v[14:15], v[94:95], v[238:239]
	v_fma_f64 v[12:13], v[74:75], v[224:225], -v[2:3]
	v_fma_f64 v[88:89], v[98:99], v[244:245], -v[70:71]
	v_mul_f64 v[70:71], v[98:99], v[246:247]
	v_mul_f64 v[2:3], v[74:75], v[226:227]
	v_fma_f64 v[8:9], v[94:95], v[236:237], -v[8:9]
	v_fma_f64 v[14:15], v[96:97], v[236:237], v[14:15]
	v_fma_f64 v[114:115], v[100:101], v[244:245], v[70:71]
	v_lshlrev_b32_e32 v70, 6, v153
	v_add_co_u32_e32 v72, vcc, s10, v70
	v_addc_co_u32_e32 v73, vcc, 0, v136, vcc
	v_add_co_u32_e32 v70, vcc, s11, v72
	v_addc_co_u32_e32 v71, vcc, 0, v73, vcc
	v_add_co_u32_e32 v72, vcc, s16, v72
	v_addc_co_u32_e32 v73, vcc, 0, v73, vcc
	global_load_dwordx4 v[196:199], v[72:73], off offset:1728
	global_load_dwordx4 v[228:231], v[70:71], off offset:48
	;; [unrolled: 1-line block ×4, first 2 shown]
	v_fma_f64 v[64:65], v[76:77], v[224:225], v[2:3]
	s_waitcnt vmcnt(4)
	v_mul_f64 v[2:3], v[80:81], v[234:235]
	v_fma_f64 v[10:11], v[78:79], v[232:233], -v[2:3]
	v_mul_f64 v[2:3], v[78:79], v[234:235]
	v_fma_f64 v[2:3], v[80:81], v[232:233], v[2:3]
	s_waitcnt vmcnt(3) lgkmcnt(13)
	v_mul_f64 v[70:71], v[108:109], v[198:199]
	v_fma_f64 v[76:77], v[106:107], v[196:197], -v[70:71]
	v_mul_f64 v[70:71], v[106:107], v[198:199]
	v_fma_f64 v[74:75], v[108:109], v[196:197], v[70:71]
	s_waitcnt vmcnt(0) lgkmcnt(12)
	v_mul_f64 v[70:71], v[62:63], v[214:215]
	v_fma_f64 v[80:81], v[60:61], v[212:213], -v[70:71]
	v_mul_f64 v[60:61], v[60:61], v[214:215]
	v_fma_f64 v[60:61], v[62:63], v[212:213], v[60:61]
	s_waitcnt lgkmcnt(11)
	v_mul_f64 v[62:63], v[58:59], v[218:219]
	v_fma_f64 v[62:63], v[56:57], v[216:217], -v[62:63]
	v_mul_f64 v[56:57], v[56:57], v[218:219]
	v_fma_f64 v[70:71], v[58:59], v[216:217], v[56:57]
	s_waitcnt lgkmcnt(10)
	v_mul_f64 v[56:57], v[54:55], v[230:231]
	v_fma_f64 v[58:59], v[52:53], v[228:229], -v[56:57]
	v_mul_f64 v[52:53], v[52:53], v[230:231]
	v_fma_f64 v[72:73], v[54:55], v[228:229], v[52:53]
	v_lshlrev_b32_e32 v52, 6, v154
	v_add_co_u32_e32 v54, vcc, s10, v52
	v_addc_co_u32_e32 v55, vcc, 0, v136, vcc
	v_add_co_u32_e32 v52, vcc, s11, v54
	v_addc_co_u32_e32 v53, vcc, 0, v55, vcc
	;; [unrolled: 2-line block ×3, first 2 shown]
	global_load_dwordx4 v[172:175], v[54:55], off offset:1728
	global_load_dwordx4 v[204:207], v[52:53], off offset:48
	;; [unrolled: 1-line block ×4, first 2 shown]
	s_waitcnt vmcnt(3) lgkmcnt(8)
	v_mul_f64 v[52:53], v[50:51], v[174:175]
	v_fma_f64 v[52:53], v[48:49], v[172:173], -v[52:53]
	v_mul_f64 v[48:49], v[48:49], v[174:175]
	v_fma_f64 v[82:83], v[50:51], v[172:173], v[48:49]
	s_waitcnt vmcnt(0) lgkmcnt(7)
	v_mul_f64 v[48:49], v[46:47], v[182:183]
	v_fma_f64 v[78:79], v[44:45], v[180:181], -v[48:49]
	v_mul_f64 v[44:45], v[44:45], v[182:183]
	v_fma_f64 v[98:99], v[46:47], v[180:181], v[44:45]
	s_waitcnt lgkmcnt(6)
	v_mul_f64 v[44:45], v[42:43], v[194:195]
	v_fma_f64 v[106:107], v[40:41], v[192:193], -v[44:45]
	v_mul_f64 v[40:41], v[40:41], v[194:195]
	v_fma_f64 v[40:41], v[42:43], v[192:193], v[40:41]
	s_waitcnt lgkmcnt(5)
	v_mul_f64 v[42:43], v[38:39], v[206:207]
	v_fma_f64 v[108:109], v[36:37], v[204:205], -v[42:43]
	v_mul_f64 v[36:37], v[36:37], v[206:207]
	v_fma_f64 v[36:37], v[38:39], v[204:205], v[36:37]
	v_lshlrev_b32_e32 v38, 6, v155
	v_add_co_u32_e32 v42, vcc, s10, v38
	v_addc_co_u32_e32 v43, vcc, 0, v136, vcc
	v_add_co_u32_e32 v38, vcc, s11, v42
	v_addc_co_u32_e32 v39, vcc, 0, v43, vcc
	;; [unrolled: 2-line block ×3, first 2 shown]
	global_load_dwordx4 v[134:137], v[42:43], off offset:1728
	global_load_dwordx4 v[168:171], v[38:39], off offset:48
	;; [unrolled: 1-line block ×4, first 2 shown]
	s_mov_b32 s10, 0xc350
	s_waitcnt vmcnt(3) lgkmcnt(3)
	v_mul_f64 v[38:39], v[34:35], v[136:137]
	v_fma_f64 v[38:39], v[32:33], v[134:135], -v[38:39]
	v_mul_f64 v[32:33], v[32:33], v[136:137]
	v_fma_f64 v[32:33], v[34:35], v[134:135], v[32:33]
	s_waitcnt vmcnt(0) lgkmcnt(2)
	v_mul_f64 v[34:35], v[30:31], v[154:155]
	v_fma_f64 v[94:95], v[28:29], v[152:153], -v[34:35]
	v_mul_f64 v[28:29], v[28:29], v[154:155]
	v_add_f64 v[34:35], v[128:129], -v[0:1]
	v_fma_f64 v[42:43], v[30:31], v[152:153], v[28:29]
	s_waitcnt lgkmcnt(1)
	v_mul_f64 v[28:29], v[26:27], v[158:159]
	v_add_f64 v[30:31], v[120:121], -v[124:125]
	v_fma_f64 v[96:97], v[24:25], v[156:157], -v[28:29]
	v_mul_f64 v[24:25], v[24:25], v[158:159]
	v_add_f64 v[28:29], v[86:87], -v[6:7]
	v_add_f64 v[30:31], v[30:31], v[34:35]
	v_add_f64 v[34:35], v[108:109], -v[106:107]
	v_fma_f64 v[54:55], v[26:27], v[156:157], v[24:25]
	s_waitcnt lgkmcnt(0)
	v_mul_f64 v[24:25], v[22:23], v[170:171]
	v_fma_f64 v[100:101], v[20:21], v[168:169], -v[24:25]
	v_mul_f64 v[20:21], v[20:21], v[170:171]
	v_add_f64 v[24:25], v[84:85], -v[4:5]
	v_fma_f64 v[20:21], v[22:23], v[168:169], v[20:21]
	v_add_f64 v[22:23], v[16:17], v[120:121]
	v_add_f64 v[22:23], v[22:23], v[124:125]
	;; [unrolled: 1-line block ×5, first 2 shown]
	v_fma_f64 v[22:23], v[22:23], -0.5, v[16:17]
	v_fma_f64 v[26:27], v[24:25], s[4:5], v[22:23]
	v_fma_f64 v[22:23], v[24:25], s[14:15], v[22:23]
	;; [unrolled: 1-line block ×6, first 2 shown]
	v_add_f64 v[22:23], v[120:121], v[128:129]
	v_add_f64 v[26:27], v[124:125], -v[120:121]
	v_add_f64 v[30:31], v[0:1], -v[128:129]
	;; [unrolled: 1-line block ×3, first 2 shown]
	v_fma_f64 v[16:17], v[22:23], -0.5, v[16:17]
	v_add_f64 v[30:31], v[26:27], v[30:31]
	v_fma_f64 v[22:23], v[28:29], s[14:15], v[16:17]
	v_fma_f64 v[16:17], v[28:29], s[4:5], v[16:17]
	v_add_f64 v[28:29], v[84:85], -v[86:87]
	v_fma_f64 v[22:23], v[24:25], s[8:9], v[22:23]
	v_fma_f64 v[16:17], v[24:25], s[6:7], v[16:17]
	;; [unrolled: 1-line block ×4, first 2 shown]
	v_add_f64 v[16:17], v[18:19], v[84:85]
	v_add_f64 v[22:23], v[120:121], -v[128:129]
	v_add_f64 v[30:31], v[4:5], -v[6:7]
	v_add_f64 v[16:17], v[16:17], v[86:87]
	v_add_f64 v[28:29], v[28:29], v[30:31]
	v_add_f64 v[30:31], v[8:9], -v[88:89]
	v_add_f64 v[16:17], v[16:17], v[6:7]
	v_add_f64 v[132:133], v[16:17], v[4:5]
	;; [unrolled: 1-line block ×3, first 2 shown]
	v_fma_f64 v[16:17], v[16:17], -0.5, v[18:19]
	v_fma_f64 v[24:25], v[22:23], s[14:15], v[16:17]
	v_fma_f64 v[16:17], v[22:23], s[4:5], v[16:17]
	;; [unrolled: 1-line block ×6, first 2 shown]
	v_add_f64 v[16:17], v[84:85], v[4:5]
	v_add_f64 v[24:25], v[86:87], -v[84:85]
	v_add_f64 v[4:5], v[6:7], -v[4:5]
	v_fma_f64 v[16:17], v[16:17], -0.5, v[18:19]
	v_add_f64 v[4:5], v[24:25], v[4:5]
	v_add_f64 v[24:25], v[88:89], -v[8:9]
	v_fma_f64 v[18:19], v[0:1], s[4:5], v[16:17]
	v_fma_f64 v[0:1], v[0:1], s[14:15], v[16:17]
	v_add_f64 v[16:17], v[12:13], -v[10:11]
	v_fma_f64 v[18:19], v[22:23], s[6:7], v[18:19]
	v_fma_f64 v[0:1], v[22:23], s[8:9], v[0:1]
	v_add_f64 v[16:17], v[16:17], v[24:25]
	v_add_f64 v[24:25], v[10:11], -v[12:13]
	v_fma_f64 v[28:29], v[4:5], s[2:3], v[18:19]
	v_fma_f64 v[128:129], v[4:5], s[2:3], v[0:1]
	v_add_f64 v[0:1], v[110:111], v[12:13]
	v_add_f64 v[4:5], v[64:65], -v[114:115]
	v_add_f64 v[18:19], v[2:3], -v[14:15]
	v_add_f64 v[24:25], v[24:25], v[30:31]
	v_add_f64 v[30:31], v[72:73], -v[70:71]
	v_add_f64 v[0:1], v[0:1], v[10:11]
	v_add_f64 v[0:1], v[0:1], v[8:9]
	;; [unrolled: 1-line block ×4, first 2 shown]
	v_add_f64 v[8:9], v[10:11], -v[8:9]
	v_fma_f64 v[0:1], v[0:1], -0.5, v[110:111]
	v_fma_f64 v[6:7], v[4:5], s[4:5], v[0:1]
	v_fma_f64 v[0:1], v[4:5], s[14:15], v[0:1]
	;; [unrolled: 1-line block ×6, first 2 shown]
	v_add_f64 v[0:1], v[12:13], v[88:89]
	v_fma_f64 v[0:1], v[0:1], -0.5, v[110:111]
	v_fma_f64 v[6:7], v[18:19], s[14:15], v[0:1]
	v_fma_f64 v[0:1], v[18:19], s[4:5], v[0:1]
	v_add_f64 v[18:19], v[114:115], -v[14:15]
	v_fma_f64 v[6:7], v[4:5], s[8:9], v[6:7]
	v_fma_f64 v[0:1], v[4:5], s[6:7], v[0:1]
	v_add_f64 v[4:5], v[112:113], v[64:65]
	v_fma_f64 v[48:49], v[24:25], s[2:3], v[6:7]
	v_fma_f64 v[0:1], v[24:25], s[2:3], v[0:1]
	v_add_f64 v[4:5], v[4:5], v[2:3]
	v_add_f64 v[6:7], v[12:13], -v[88:89]
	v_add_f64 v[4:5], v[4:5], v[14:15]
	v_add_f64 v[24:25], v[4:5], v[114:115]
	;; [unrolled: 1-line block ×3, first 2 shown]
	v_fma_f64 v[4:5], v[4:5], -0.5, v[112:113]
	v_fma_f64 v[12:13], v[6:7], s[14:15], v[4:5]
	v_fma_f64 v[4:5], v[6:7], s[4:5], v[4:5]
	;; [unrolled: 1-line block ×3, first 2 shown]
	v_add_f64 v[12:13], v[64:65], -v[2:3]
	v_fma_f64 v[4:5], v[8:9], s[8:9], v[4:5]
	v_add_f64 v[2:3], v[2:3], -v[64:65]
	v_add_f64 v[12:13], v[12:13], v[18:19]
	v_fma_f64 v[18:19], v[12:13], s[2:3], v[4:5]
	v_add_f64 v[4:5], v[64:65], v[114:115]
	v_fma_f64 v[46:47], v[12:13], s[2:3], v[10:11]
	v_add_f64 v[12:13], v[14:15], -v[114:115]
	v_add_f64 v[14:15], v[58:59], -v[62:63]
	v_fma_f64 v[4:5], v[4:5], -0.5, v[112:113]
	v_add_f64 v[2:3], v[2:3], v[12:13]
	v_add_f64 v[12:13], v[76:77], -v[80:81]
	v_fma_f64 v[10:11], v[8:9], s[4:5], v[4:5]
	v_fma_f64 v[4:5], v[8:9], s[14:15], v[4:5]
	v_add_f64 v[12:13], v[12:13], v[14:15]
	v_add_f64 v[14:15], v[62:63], -v[58:59]
	v_fma_f64 v[10:11], v[6:7], s[6:7], v[10:11]
	v_fma_f64 v[4:5], v[6:7], s[8:9], v[4:5]
	v_add_f64 v[6:7], v[74:75], -v[72:73]
	v_fma_f64 v[50:51], v[2:3], s[2:3], v[10:11]
	v_fma_f64 v[2:3], v[2:3], s[2:3], v[4:5]
	v_add_f64 v[4:5], v[66:67], v[76:77]
	v_add_f64 v[10:11], v[60:61], -v[70:71]
	v_add_f64 v[4:5], v[4:5], v[80:81]
	v_add_f64 v[4:5], v[4:5], v[62:63]
	;; [unrolled: 1-line block ×4, first 2 shown]
	v_fma_f64 v[4:5], v[4:5], -0.5, v[66:67]
	v_fma_f64 v[8:9], v[6:7], s[4:5], v[4:5]
	v_fma_f64 v[4:5], v[6:7], s[14:15], v[4:5]
	;; [unrolled: 1-line block ×6, first 2 shown]
	v_add_f64 v[4:5], v[76:77], v[58:59]
	v_add_f64 v[12:13], v[80:81], -v[76:77]
	v_fma_f64 v[4:5], v[4:5], -0.5, v[66:67]
	v_add_f64 v[12:13], v[12:13], v[14:15]
	v_add_f64 v[14:15], v[74:75], -v[60:61]
	v_fma_f64 v[8:9], v[10:11], s[14:15], v[4:5]
	v_fma_f64 v[4:5], v[10:11], s[4:5], v[4:5]
	v_add_f64 v[14:15], v[14:15], v[30:31]
	v_add_f64 v[30:31], v[70:71], -v[72:73]
	v_fma_f64 v[8:9], v[6:7], s[8:9], v[8:9]
	v_fma_f64 v[4:5], v[6:7], s[6:7], v[4:5]
	v_add_f64 v[6:7], v[68:69], v[74:75]
	v_fma_f64 v[64:65], v[12:13], s[2:3], v[8:9]
	v_add_f64 v[8:9], v[76:77], -v[58:59]
	v_add_f64 v[6:7], v[6:7], v[60:61]
	v_fma_f64 v[4:5], v[12:13], s[2:3], v[4:5]
	v_add_f64 v[12:13], v[80:81], -v[62:63]
	v_add_f64 v[62:63], v[32:33], -v[42:43]
	v_add_f64 v[6:7], v[6:7], v[70:71]
	v_add_f64 v[112:113], v[6:7], v[72:73]
	;; [unrolled: 1-line block ×3, first 2 shown]
	v_fma_f64 v[6:7], v[6:7], -0.5, v[68:69]
	v_fma_f64 v[10:11], v[8:9], s[14:15], v[6:7]
	v_fma_f64 v[6:7], v[8:9], s[4:5], v[6:7]
	;; [unrolled: 1-line block ×6, first 2 shown]
	v_add_f64 v[6:7], v[74:75], v[72:73]
	v_add_f64 v[14:15], v[60:61], -v[74:75]
	v_fma_f64 v[6:7], v[6:7], -0.5, v[68:69]
	v_add_f64 v[14:15], v[14:15], v[30:31]
	v_add_f64 v[30:31], v[52:53], -v[78:79]
	v_fma_f64 v[10:11], v[12:13], s[4:5], v[6:7]
	v_fma_f64 v[6:7], v[12:13], s[14:15], v[6:7]
	v_add_f64 v[30:31], v[30:31], v[34:35]
	v_add_f64 v[34:35], v[106:107], -v[108:109]
	v_fma_f64 v[10:11], v[8:9], s[6:7], v[10:11]
	v_fma_f64 v[6:7], v[8:9], s[8:9], v[6:7]
	v_add_f64 v[8:9], v[102:103], v[52:53]
	v_fma_f64 v[66:67], v[14:15], s[2:3], v[10:11]
	v_add_f64 v[10:11], v[82:83], -v[36:37]
	v_add_f64 v[8:9], v[8:9], v[78:79]
	v_fma_f64 v[6:7], v[14:15], s[2:3], v[6:7]
	v_add_f64 v[14:15], v[98:99], -v[40:41]
	v_add_f64 v[8:9], v[8:9], v[106:107]
	v_add_f64 v[68:69], v[8:9], v[108:109]
	;; [unrolled: 1-line block ×3, first 2 shown]
	v_fma_f64 v[8:9], v[8:9], -0.5, v[102:103]
	v_fma_f64 v[12:13], v[10:11], s[4:5], v[8:9]
	v_fma_f64 v[8:9], v[10:11], s[14:15], v[8:9]
	;; [unrolled: 1-line block ×6, first 2 shown]
	v_add_f64 v[8:9], v[52:53], v[108:109]
	v_add_f64 v[30:31], v[78:79], -v[52:53]
	v_fma_f64 v[8:9], v[8:9], -0.5, v[102:103]
	v_add_f64 v[30:31], v[30:31], v[34:35]
	v_add_f64 v[34:35], v[82:83], -v[98:99]
	v_fma_f64 v[12:13], v[14:15], s[14:15], v[8:9]
	v_fma_f64 v[8:9], v[14:15], s[4:5], v[8:9]
	;; [unrolled: 1-line block ×4, first 2 shown]
	v_add_f64 v[10:11], v[104:105], v[82:83]
	v_fma_f64 v[80:81], v[30:31], s[2:3], v[12:13]
	v_add_f64 v[12:13], v[52:53], -v[108:109]
	v_add_f64 v[10:11], v[10:11], v[98:99]
	v_fma_f64 v[8:9], v[30:31], s[2:3], v[8:9]
	v_add_f64 v[30:31], v[78:79], -v[106:107]
	v_add_f64 v[52:53], v[36:37], -v[40:41]
	v_add_f64 v[10:11], v[10:11], v[40:41]
	v_add_f64 v[34:35], v[34:35], v[52:53]
	v_add_f64 v[52:53], v[100:101], -v[96:97]
	v_add_f64 v[70:71], v[10:11], v[36:37]
	v_add_f64 v[10:11], v[98:99], v[40:41]
	v_fma_f64 v[10:11], v[10:11], -0.5, v[104:105]
	v_fma_f64 v[14:15], v[12:13], s[14:15], v[10:11]
	v_fma_f64 v[10:11], v[12:13], s[4:5], v[10:11]
	;; [unrolled: 1-line block ×6, first 2 shown]
	v_add_f64 v[10:11], v[82:83], v[36:37]
	v_add_f64 v[34:35], v[98:99], -v[82:83]
	v_add_f64 v[36:37], v[40:41], -v[36:37]
	;; [unrolled: 1-line block ×3, first 2 shown]
	v_fma_f64 v[10:11], v[10:11], -0.5, v[104:105]
	v_add_f64 v[34:35], v[34:35], v[36:37]
	v_add_f64 v[36:37], v[42:43], -v[54:55]
	v_add_f64 v[40:41], v[40:41], v[52:53]
	v_add_f64 v[52:53], v[96:97], -v[100:101]
	v_fma_f64 v[14:15], v[30:31], s[4:5], v[10:11]
	v_fma_f64 v[10:11], v[30:31], s[14:15], v[10:11]
	;; [unrolled: 1-line block ×4, first 2 shown]
	v_add_f64 v[12:13], v[90:91], v[38:39]
	v_fma_f64 v[82:83], v[34:35], s[2:3], v[14:15]
	v_fma_f64 v[10:11], v[34:35], s[2:3], v[10:11]
	v_add_f64 v[12:13], v[12:13], v[94:95]
	v_add_f64 v[14:15], v[32:33], -v[20:21]
	v_add_f64 v[12:13], v[12:13], v[96:97]
	v_add_f64 v[34:35], v[12:13], v[100:101]
	;; [unrolled: 1-line block ×3, first 2 shown]
	v_fma_f64 v[12:13], v[12:13], -0.5, v[90:91]
	v_fma_f64 v[30:31], v[14:15], s[4:5], v[12:13]
	v_fma_f64 v[12:13], v[14:15], s[14:15], v[12:13]
	;; [unrolled: 1-line block ×6, first 2 shown]
	v_add_f64 v[12:13], v[38:39], v[100:101]
	v_add_f64 v[40:41], v[94:95], -v[38:39]
	v_fma_f64 v[30:31], v[12:13], -0.5, v[90:91]
	v_add_f64 v[40:41], v[40:41], v[52:53]
	v_add_f64 v[52:53], v[94:95], -v[96:97]
	v_add_f64 v[90:91], v[20:21], -v[54:55]
	v_fma_f64 v[12:13], v[36:37], s[14:15], v[30:31]
	v_fma_f64 v[30:31], v[36:37], s[4:5], v[30:31]
	v_add_f64 v[90:91], v[62:63], v[90:91]
	v_fma_f64 v[12:13], v[14:15], s[8:9], v[12:13]
	v_fma_f64 v[14:15], v[14:15], s[6:7], v[30:31]
	v_add_f64 v[30:31], v[38:39], -v[100:101]
	v_fma_f64 v[12:13], v[40:41], s[2:3], v[12:13]
	v_fma_f64 v[40:41], v[40:41], s[2:3], v[14:15]
	v_add_f64 v[14:15], v[92:93], v[32:33]
	v_add_f64 v[14:15], v[14:15], v[42:43]
	;; [unrolled: 1-line block ×5, first 2 shown]
	v_fma_f64 v[14:15], v[14:15], -0.5, v[92:93]
	v_fma_f64 v[38:39], v[30:31], s[14:15], v[14:15]
	v_fma_f64 v[14:15], v[30:31], s[4:5], v[14:15]
	;; [unrolled: 1-line block ×6, first 2 shown]
	v_add_f64 v[14:15], v[32:33], v[20:21]
	v_add_f64 v[32:33], v[42:43], -v[32:33]
	v_add_f64 v[20:21], v[54:55], -v[20:21]
	v_fma_f64 v[38:39], v[14:15], -0.5, v[92:93]
	v_add_f64 v[20:21], v[32:33], v[20:21]
	v_fma_f64 v[14:15], v[52:53], s[4:5], v[38:39]
	v_fma_f64 v[32:33], v[52:53], s[14:15], v[38:39]
	;; [unrolled: 1-line block ×6, first 2 shown]
	ds_write_b128 v116, v[130:133]
	ds_write_b128 v116, v[118:121] offset:10000
	ds_write_b128 v116, v[26:29] offset:20000
	;; [unrolled: 1-line block ×24, first 2 shown]
	v_add_co_u32_e32 v18, vcc, s10, v140
	v_addc_co_u32_e32 v19, vcc, 0, v117, vcc
	s_mov_b32 s10, 0xc000
	v_add_co_u32_e32 v4, vcc, s10, v140
	v_addc_co_u32_e32 v5, vcc, 0, v117, vcc
	s_waitcnt lgkmcnt(0)
	s_barrier
	global_load_dwordx4 v[4:7], v[4:5], off offset:848
	ds_read_b128 v[0:3], v116
	s_mov_b32 s10, 0xe000
	s_waitcnt vmcnt(0) lgkmcnt(0)
	v_mul_f64 v[8:9], v[2:3], v[6:7]
	v_fma_f64 v[8:9], v[0:1], v[4:5], -v[8:9]
	v_mul_f64 v[0:1], v[0:1], v[6:7]
	v_fma_f64 v[10:11], v[2:3], v[4:5], v[0:1]
	ds_read_b128 v[0:3], v116 offset:10000
	ds_write_b128 v116, v[8:11]
	v_add_co_u32_e32 v8, vcc, s10, v140
	v_addc_co_u32_e32 v9, vcc, 0, v117, vcc
	global_load_dwordx4 v[4:7], v[8:9], off offset:2656
	s_mov_b32 s10, 0x11000
	v_add_co_u32_e32 v20, vcc, s10, v140
	v_addc_co_u32_e32 v21, vcc, 0, v117, vcc
	s_mov_b32 s10, 0x13000
	s_waitcnt vmcnt(0) lgkmcnt(1)
	v_mul_f64 v[10:11], v[2:3], v[6:7]
	v_fma_f64 v[10:11], v[0:1], v[4:5], -v[10:11]
	v_mul_f64 v[0:1], v[0:1], v[6:7]
	v_fma_f64 v[12:13], v[2:3], v[4:5], v[0:1]
	global_load_dwordx4 v[4:7], v[20:21], off offset:368
	ds_read_b128 v[0:3], v116 offset:20000
	ds_write_b128 v116, v[10:13] offset:10000
	s_waitcnt vmcnt(0) lgkmcnt(1)
	v_mul_f64 v[10:11], v[2:3], v[6:7]
	v_fma_f64 v[10:11], v[0:1], v[4:5], -v[10:11]
	v_mul_f64 v[0:1], v[0:1], v[6:7]
	v_add_co_u32_e32 v6, vcc, s10, v140
	v_addc_co_u32_e32 v7, vcc, 0, v117, vcc
	s_mov_b32 s10, 0x15000
	v_fma_f64 v[12:13], v[2:3], v[4:5], v[0:1]
	ds_read_b128 v[0:3], v116 offset:30000
	ds_write_b128 v116, v[10:13] offset:20000
	global_load_dwordx4 v[10:13], v[6:7], off offset:2176
	s_waitcnt vmcnt(0) lgkmcnt(1)
	v_mul_f64 v[4:5], v[2:3], v[12:13]
	v_fma_f64 v[14:15], v[0:1], v[10:11], -v[4:5]
	v_mul_f64 v[0:1], v[0:1], v[12:13]
	v_add_co_u32_e32 v4, vcc, s10, v140
	v_addc_co_u32_e32 v5, vcc, 0, v117, vcc
	s_mov_b32 s10, 0xf000
	v_add_co_u32_e32 v22, vcc, s10, v140
	v_fma_f64 v[16:17], v[2:3], v[10:11], v[0:1]
	global_load_dwordx4 v[10:13], v[4:5], off offset:3984
	ds_read_b128 v[0:3], v116 offset:40000
	v_addc_co_u32_e32 v23, vcc, 0, v117, vcc
	s_mov_b32 s10, 0x14000
	v_add_co_u32_e32 v24, vcc, s10, v140
	ds_write_b128 v116, v[14:17] offset:30000
	v_addc_co_u32_e32 v25, vcc, 0, v117, vcc
	s_mov_b32 s10, 0x16000
	s_waitcnt vmcnt(0) lgkmcnt(1)
	v_mul_f64 v[14:15], v[2:3], v[12:13]
	v_fma_f64 v[14:15], v[0:1], v[10:11], -v[14:15]
	v_mul_f64 v[0:1], v[0:1], v[12:13]
	v_fma_f64 v[16:17], v[2:3], v[10:11], v[0:1]
	global_load_dwordx4 v[10:13], v[18:19], off offset:2000
	ds_read_b128 v[0:3], v116 offset:2000
	ds_write_b128 v116, v[14:17] offset:40000
	s_waitcnt vmcnt(0) lgkmcnt(1)
	v_mul_f64 v[14:15], v[2:3], v[12:13]
	v_fma_f64 v[14:15], v[0:1], v[10:11], -v[14:15]
	v_mul_f64 v[0:1], v[0:1], v[12:13]
	v_fma_f64 v[16:17], v[2:3], v[10:11], v[0:1]
	global_load_dwordx4 v[10:13], v[22:23], off offset:560
	ds_read_b128 v[0:3], v116 offset:12000
	ds_write_b128 v116, v[14:17] offset:2000
	s_waitcnt vmcnt(0) lgkmcnt(1)
	v_mul_f64 v[14:15], v[2:3], v[12:13]
	v_fma_f64 v[14:15], v[0:1], v[10:11], -v[14:15]
	v_mul_f64 v[0:1], v[0:1], v[12:13]
	v_fma_f64 v[16:17], v[2:3], v[10:11], v[0:1]
	global_load_dwordx4 v[10:13], v[20:21], off offset:2368
	ds_read_b128 v[0:3], v116 offset:22000
	v_add_co_u32_e32 v20, vcc, s10, v140
	v_addc_co_u32_e32 v21, vcc, 0, v117, vcc
	s_mov_b32 s10, 0x12000
	ds_write_b128 v116, v[14:17] offset:12000
	s_waitcnt vmcnt(0) lgkmcnt(1)
	v_mul_f64 v[14:15], v[2:3], v[12:13]
	v_fma_f64 v[14:15], v[0:1], v[10:11], -v[14:15]
	v_mul_f64 v[0:1], v[0:1], v[12:13]
	v_fma_f64 v[16:17], v[2:3], v[10:11], v[0:1]
	global_load_dwordx4 v[10:13], v[24:25], off offset:80
	ds_read_b128 v[0:3], v116 offset:32000
	ds_write_b128 v116, v[14:17] offset:22000
	s_waitcnt vmcnt(0) lgkmcnt(1)
	v_mul_f64 v[14:15], v[2:3], v[12:13]
	v_fma_f64 v[14:15], v[0:1], v[10:11], -v[14:15]
	v_mul_f64 v[0:1], v[0:1], v[12:13]
	v_fma_f64 v[16:17], v[2:3], v[10:11], v[0:1]
	global_load_dwordx4 v[10:13], v[20:21], off offset:1888
	ds_read_b128 v[0:3], v116 offset:42000
	;; [unrolled: 8-line block ×4, first 2 shown]
	v_add_co_u32_e32 v22, vcc, s10, v140
	v_addc_co_u32_e32 v23, vcc, 0, v117, vcc
	s_mov_b32 s10, 0xd000
	ds_write_b128 v116, v[14:17] offset:4000
	s_waitcnt vmcnt(0) lgkmcnt(1)
	v_mul_f64 v[14:15], v[2:3], v[12:13]
	v_fma_f64 v[14:15], v[0:1], v[10:11], -v[14:15]
	v_mul_f64 v[0:1], v[0:1], v[12:13]
	v_fma_f64 v[16:17], v[2:3], v[10:11], v[0:1]
	global_load_dwordx4 v[10:13], v[22:23], off offset:272
	ds_read_b128 v[0:3], v116 offset:24000
	ds_write_b128 v116, v[14:17] offset:14000
	s_waitcnt vmcnt(0) lgkmcnt(1)
	v_mul_f64 v[14:15], v[2:3], v[12:13]
	v_fma_f64 v[14:15], v[0:1], v[10:11], -v[14:15]
	v_mul_f64 v[0:1], v[0:1], v[12:13]
	v_fma_f64 v[16:17], v[2:3], v[10:11], v[0:1]
	global_load_dwordx4 v[10:13], v[24:25], off offset:2080
	ds_read_b128 v[0:3], v116 offset:34000
	;; [unrolled: 8-line block ×3, first 2 shown]
	ds_write_b128 v116, v[14:17] offset:34000
	s_waitcnt vmcnt(0) lgkmcnt(1)
	v_mul_f64 v[14:15], v[2:3], v[12:13]
	v_fma_f64 v[14:15], v[0:1], v[10:11], -v[14:15]
	v_mul_f64 v[0:1], v[0:1], v[12:13]
	v_fma_f64 v[16:17], v[2:3], v[10:11], v[0:1]
	v_add_co_u32_e32 v10, vcc, s10, v140
	v_addc_co_u32_e32 v11, vcc, 0, v117, vcc
	global_load_dwordx4 v[10:13], v[10:11], off offset:2752
	ds_read_b128 v[0:3], v116 offset:6000
	s_mov_b32 s10, 0x10000
	ds_write_b128 v116, v[14:17] offset:44000
	s_waitcnt vmcnt(0) lgkmcnt(1)
	v_mul_f64 v[14:15], v[2:3], v[12:13]
	v_fma_f64 v[14:15], v[0:1], v[10:11], -v[14:15]
	v_mul_f64 v[0:1], v[0:1], v[12:13]
	v_add_co_u32_e32 v12, vcc, s10, v140
	v_addc_co_u32_e32 v13, vcc, 0, v117, vcc
	s_mov_b32 s10, 0x17000
	v_fma_f64 v[16:17], v[2:3], v[10:11], v[0:1]
	ds_read_b128 v[0:3], v116 offset:16000
	ds_write_b128 v116, v[14:17] offset:6000
	global_load_dwordx4 v[14:17], v[12:13], off offset:464
	s_waitcnt vmcnt(0) lgkmcnt(1)
	v_mul_f64 v[10:11], v[2:3], v[16:17]
	v_fma_f64 v[18:19], v[0:1], v[14:15], -v[10:11]
	v_mul_f64 v[0:1], v[0:1], v[16:17]
	v_fma_f64 v[20:21], v[2:3], v[14:15], v[0:1]
	global_load_dwordx4 v[14:17], v[22:23], off offset:2272
	ds_read_b128 v[0:3], v116 offset:26000
	ds_write_b128 v116, v[18:21] offset:16000
	s_waitcnt vmcnt(0) lgkmcnt(1)
	v_mul_f64 v[10:11], v[2:3], v[16:17]
	v_fma_f64 v[18:19], v[0:1], v[14:15], -v[10:11]
	v_mul_f64 v[0:1], v[0:1], v[16:17]
	v_fma_f64 v[20:21], v[2:3], v[14:15], v[0:1]
	global_load_dwordx4 v[14:17], v[24:25], off offset:4080
	ds_read_b128 v[0:3], v116 offset:36000
	ds_write_b128 v116, v[18:21] offset:26000
	s_waitcnt vmcnt(0) lgkmcnt(1)
	v_mul_f64 v[10:11], v[2:3], v[16:17]
	v_fma_f64 v[18:19], v[0:1], v[14:15], -v[10:11]
	v_mul_f64 v[0:1], v[0:1], v[16:17]
	v_add_co_u32_e32 v10, vcc, s10, v140
	v_addc_co_u32_e32 v11, vcc, 0, v117, vcc
	v_fma_f64 v[20:21], v[2:3], v[14:15], v[0:1]
	global_load_dwordx4 v[14:17], v[10:11], off offset:1792
	ds_read_b128 v[0:3], v116 offset:46000
	ds_write_b128 v116, v[18:21] offset:36000
	s_waitcnt vmcnt(0) lgkmcnt(1)
	v_mul_f64 v[18:19], v[2:3], v[16:17]
	v_fma_f64 v[18:19], v[0:1], v[14:15], -v[18:19]
	v_mul_f64 v[0:1], v[0:1], v[16:17]
	v_fma_f64 v[20:21], v[2:3], v[14:15], v[0:1]
	global_load_dwordx4 v[14:17], v[8:9], off offset:656
	ds_read_b128 v[0:3], v116 offset:8000
	ds_write_b128 v116, v[18:21] offset:46000
	s_waitcnt vmcnt(0) lgkmcnt(1)
	v_mul_f64 v[8:9], v[2:3], v[16:17]
	v_fma_f64 v[18:19], v[0:1], v[14:15], -v[8:9]
	v_mul_f64 v[0:1], v[0:1], v[16:17]
	v_fma_f64 v[20:21], v[2:3], v[14:15], v[0:1]
	global_load_dwordx4 v[12:15], v[12:13], off offset:2464
	ds_read_b128 v[0:3], v116 offset:18000
	ds_write_b128 v116, v[18:21] offset:8000
	s_waitcnt vmcnt(0) lgkmcnt(1)
	v_mul_f64 v[8:9], v[2:3], v[14:15]
	v_fma_f64 v[16:17], v[0:1], v[12:13], -v[8:9]
	global_load_dwordx4 v[6:9], v[6:7], off offset:176
	v_mul_f64 v[0:1], v[0:1], v[14:15]
	v_fma_f64 v[18:19], v[2:3], v[12:13], v[0:1]
	ds_read_b128 v[0:3], v116 offset:28000
	ds_write_b128 v116, v[16:19] offset:18000
	s_waitcnt vmcnt(0) lgkmcnt(1)
	v_mul_f64 v[12:13], v[2:3], v[8:9]
	v_fma_f64 v[12:13], v[0:1], v[6:7], -v[12:13]
	v_mul_f64 v[0:1], v[0:1], v[8:9]
	v_fma_f64 v[14:15], v[2:3], v[6:7], v[0:1]
	global_load_dwordx4 v[4:7], v[4:5], off offset:1984
	ds_read_b128 v[0:3], v116 offset:38000
	ds_write_b128 v116, v[12:15] offset:28000
	s_waitcnt vmcnt(0) lgkmcnt(1)
	v_mul_f64 v[8:9], v[2:3], v[6:7]
	v_fma_f64 v[12:13], v[0:1], v[4:5], -v[8:9]
	v_mul_f64 v[0:1], v[0:1], v[6:7]
	v_fma_f64 v[14:15], v[2:3], v[4:5], v[0:1]
	global_load_dwordx4 v[4:7], v[10:11], off offset:3792
	ds_read_b128 v[0:3], v116 offset:48000
	ds_write_b128 v116, v[12:15] offset:38000
	s_waitcnt vmcnt(0) lgkmcnt(1)
	v_mul_f64 v[8:9], v[2:3], v[6:7]
	v_fma_f64 v[8:9], v[0:1], v[4:5], -v[8:9]
	v_mul_f64 v[0:1], v[0:1], v[6:7]
	v_fma_f64 v[10:11], v[2:3], v[4:5], v[0:1]
	ds_write_b128 v116, v[8:11] offset:48000
	s_waitcnt lgkmcnt(0)
	s_barrier
	ds_read_b128 v[82:85], v116
	ds_read_b128 v[86:89], v116 offset:10000
	ds_read_b128 v[90:93], v116 offset:20000
	;; [unrolled: 1-line block ×24, first 2 shown]
	s_waitcnt lgkmcnt(14)
	v_add_f64 v[76:77], v[82:83], v[86:87]
	v_add_f64 v[94:95], v[88:89], -v[123:124]
	v_add_f64 v[98:99], v[92:93], -v[119:120]
	;; [unrolled: 1-line block ×4, first 2 shown]
	s_waitcnt lgkmcnt(0)
	s_barrier
	v_add_f64 v[76:77], v[76:77], v[90:91]
	v_add_f64 v[100:101], v[100:101], v[102:103]
	;; [unrolled: 1-line block ×5, first 2 shown]
	v_fma_f64 v[76:77], v[76:77], -0.5, v[82:83]
	v_fma_f64 v[96:97], v[94:95], s[14:15], v[76:77]
	v_fma_f64 v[76:77], v[94:95], s[4:5], v[76:77]
	;; [unrolled: 1-line block ×6, first 2 shown]
	v_add_f64 v[76:77], v[86:87], v[121:122]
	v_add_f64 v[96:97], v[90:91], -v[86:87]
	v_add_f64 v[100:101], v[117:118], -v[121:122]
	;; [unrolled: 1-line block ×3, first 2 shown]
	v_fma_f64 v[76:77], v[76:77], -0.5, v[82:83]
	v_add_f64 v[100:101], v[96:97], v[100:101]
	v_fma_f64 v[82:83], v[98:99], s[4:5], v[76:77]
	v_fma_f64 v[76:77], v[98:99], s[14:15], v[76:77]
	v_add_f64 v[98:99], v[123:124], -v[119:120]
	v_fma_f64 v[82:83], v[94:95], s[6:7], v[82:83]
	v_fma_f64 v[76:77], v[94:95], s[8:9], v[76:77]
	v_add_f64 v[94:95], v[88:89], -v[92:93]
	v_fma_f64 v[96:97], v[100:101], s[2:3], v[82:83]
	v_fma_f64 v[100:101], v[100:101], s[2:3], v[76:77]
	v_add_f64 v[76:77], v[84:85], v[88:89]
	v_add_f64 v[82:83], v[86:87], -v[121:122]
	v_add_f64 v[94:95], v[94:95], v[98:99]
	v_add_f64 v[76:77], v[76:77], v[92:93]
	;; [unrolled: 1-line block ×5, first 2 shown]
	v_fma_f64 v[76:77], v[76:77], -0.5, v[84:85]
	v_fma_f64 v[86:87], v[82:83], s[4:5], v[76:77]
	v_fma_f64 v[76:77], v[82:83], s[14:15], v[76:77]
	;; [unrolled: 1-line block ×6, first 2 shown]
	v_add_f64 v[76:77], v[88:89], v[123:124]
	v_add_f64 v[86:87], v[92:93], -v[88:89]
	v_add_f64 v[88:89], v[119:120], -v[123:124]
	;; [unrolled: 1-line block ×4, first 2 shown]
	v_fma_f64 v[76:77], v[76:77], -0.5, v[84:85]
	v_add_f64 v[86:87], v[86:87], v[88:89]
	v_fma_f64 v[84:85], v[90:91], s[14:15], v[76:77]
	v_fma_f64 v[76:77], v[90:91], s[4:5], v[76:77]
	v_add_f64 v[90:91], v[68:69], -v[78:79]
	v_fma_f64 v[84:85], v[82:83], s[8:9], v[84:85]
	v_fma_f64 v[76:77], v[82:83], s[6:7], v[76:77]
	v_add_f64 v[82:83], v[70:71], -v[66:67]
	v_add_f64 v[90:91], v[90:91], v[92:93]
	v_fma_f64 v[98:99], v[86:87], s[2:3], v[84:85]
	v_fma_f64 v[102:103], v[86:87], s[2:3], v[76:77]
	v_add_f64 v[76:77], v[72:73], v[68:69]
	v_add_f64 v[86:87], v[80:81], -v[62:63]
	v_add_f64 v[76:77], v[76:77], v[78:79]
	v_add_f64 v[76:77], v[76:77], v[60:61]
	;; [unrolled: 1-line block ×4, first 2 shown]
	v_add_f64 v[60:61], v[78:79], -v[60:61]
	v_fma_f64 v[76:77], v[76:77], -0.5, v[72:73]
	v_fma_f64 v[84:85], v[82:83], s[14:15], v[76:77]
	v_fma_f64 v[76:77], v[82:83], s[4:5], v[76:77]
	v_fma_f64 v[84:85], v[86:87], s[6:7], v[84:85]
	v_fma_f64 v[76:77], v[86:87], s[8:9], v[76:77]
	v_fma_f64 v[84:85], v[90:91], s[2:3], v[84:85]
	v_fma_f64 v[92:93], v[90:91], s[2:3], v[76:77]
	v_add_f64 v[76:77], v[68:69], v[64:65]
	v_add_f64 v[90:91], v[78:79], -v[68:69]
	v_add_f64 v[64:65], v[68:69], -v[64:65]
	;; [unrolled: 1-line block ×3, first 2 shown]
	v_fma_f64 v[76:77], v[76:77], -0.5, v[72:73]
	v_add_f64 v[90:91], v[90:91], v[94:95]
	v_fma_f64 v[72:73], v[86:87], s[4:5], v[76:77]
	v_fma_f64 v[76:77], v[86:87], s[14:15], v[76:77]
	v_add_f64 v[86:87], v[66:67], -v[62:63]
	v_fma_f64 v[72:73], v[82:83], s[6:7], v[72:73]
	v_fma_f64 v[76:77], v[82:83], s[8:9], v[76:77]
	v_add_f64 v[82:83], v[74:75], v[70:71]
	v_add_f64 v[78:79], v[78:79], v[86:87]
	v_fma_f64 v[72:73], v[90:91], s[2:3], v[72:73]
	v_fma_f64 v[76:77], v[90:91], s[2:3], v[76:77]
	v_add_f64 v[82:83], v[82:83], v[80:81]
	v_add_f64 v[82:83], v[82:83], v[62:63]
	;; [unrolled: 1-line block ×4, first 2 shown]
	v_add_f64 v[62:63], v[62:63], -v[66:67]
	v_fma_f64 v[82:83], v[82:83], -0.5, v[74:75]
	v_fma_f64 v[68:69], v[64:65], s[4:5], v[82:83]
	v_fma_f64 v[68:69], v[60:61], s[8:9], v[68:69]
	;; [unrolled: 1-line block ×4, first 2 shown]
	v_add_f64 v[82:83], v[12:13], -v[8:9]
	v_fma_f64 v[68:69], v[60:61], s[6:7], v[68:69]
	v_fma_f64 v[94:95], v[78:79], s[2:3], v[68:69]
	v_add_f64 v[68:69], v[70:71], v[66:67]
	v_add_f64 v[70:71], v[80:81], -v[70:71]
	v_add_f64 v[66:67], v[2:3], -v[14:15]
	;; [unrolled: 1-line block ×3, first 2 shown]
	v_fma_f64 v[68:69], v[68:69], -0.5, v[74:75]
	v_add_f64 v[62:63], v[70:71], v[62:63]
	v_add_f64 v[70:71], v[4:5], -v[0:1]
	v_fma_f64 v[74:75], v[60:61], s[14:15], v[68:69]
	v_fma_f64 v[60:61], v[60:61], s[4:5], v[68:69]
	v_add_f64 v[70:71], v[70:71], v[80:81]
	v_fma_f64 v[74:75], v[64:65], s[8:9], v[74:75]
	v_fma_f64 v[60:61], v[64:65], s[6:7], v[60:61]
	;; [unrolled: 1-line block ×4, first 2 shown]
	v_add_f64 v[60:61], v[56:57], v[4:5]
	v_add_f64 v[62:63], v[6:7], -v[10:11]
	v_add_f64 v[60:61], v[60:61], v[0:1]
	v_add_f64 v[60:61], v[60:61], v[12:13]
	;; [unrolled: 1-line block ×4, first 2 shown]
	v_fma_f64 v[60:61], v[60:61], -0.5, v[56:57]
	v_fma_f64 v[64:65], v[62:63], s[14:15], v[60:61]
	v_fma_f64 v[60:61], v[62:63], s[4:5], v[60:61]
	;; [unrolled: 1-line block ×6, first 2 shown]
	v_add_f64 v[60:61], v[4:5], v[8:9]
	v_add_f64 v[70:71], v[0:1], -v[4:5]
	v_add_f64 v[4:5], v[4:5], -v[8:9]
	;; [unrolled: 1-line block ×4, first 2 shown]
	v_fma_f64 v[60:61], v[60:61], -0.5, v[56:57]
	v_add_f64 v[70:71], v[70:71], v[82:83]
	v_fma_f64 v[56:57], v[66:67], s[4:5], v[60:61]
	v_fma_f64 v[60:61], v[66:67], s[14:15], v[60:61]
	v_add_f64 v[66:67], v[10:11], -v[14:15]
	v_fma_f64 v[56:57], v[62:63], s[6:7], v[56:57]
	v_fma_f64 v[60:61], v[62:63], s[8:9], v[60:61]
	v_add_f64 v[62:63], v[58:59], v[6:7]
	v_add_f64 v[12:13], v[12:13], v[66:67]
	v_fma_f64 v[56:57], v[70:71], s[2:3], v[56:57]
	v_fma_f64 v[60:61], v[70:71], s[2:3], v[60:61]
	v_add_f64 v[62:63], v[62:63], v[2:3]
	v_add_f64 v[62:63], v[62:63], v[14:15]
	v_add_f64 v[70:71], v[62:63], v[10:11]
	v_add_f64 v[62:63], v[2:3], v[14:15]
	v_add_f64 v[2:3], v[2:3], -v[6:7]
	v_fma_f64 v[62:63], v[62:63], -0.5, v[58:59]
	v_fma_f64 v[8:9], v[4:5], s[4:5], v[62:63]
	v_fma_f64 v[8:9], v[0:1], s[8:9], v[8:9]
	;; [unrolled: 1-line block ×6, first 2 shown]
	v_add_f64 v[8:9], v[6:7], v[10:11]
	v_add_f64 v[6:7], v[14:15], -v[10:11]
	v_add_f64 v[10:11], v[18:19], -v[30:31]
	;; [unrolled: 1-line block ×3, first 2 shown]
	v_fma_f64 v[8:9], v[8:9], -0.5, v[58:59]
	v_add_f64 v[2:3], v[2:3], v[6:7]
	v_fma_f64 v[12:13], v[0:1], s[14:15], v[8:9]
	v_fma_f64 v[0:1], v[0:1], s[4:5], v[8:9]
	v_add_f64 v[8:9], v[20:21], -v[16:17]
	v_fma_f64 v[12:13], v[4:5], s[8:9], v[12:13]
	v_fma_f64 v[0:1], v[4:5], s[6:7], v[0:1]
	;; [unrolled: 1-line block ×4, first 2 shown]
	v_add_f64 v[0:1], v[48:49], v[20:21]
	v_add_f64 v[2:3], v[22:23], -v[26:27]
	v_add_f64 v[12:13], v[24:25], -v[28:29]
	v_add_f64 v[0:1], v[0:1], v[16:17]
	v_add_f64 v[12:13], v[8:9], v[12:13]
	;; [unrolled: 1-line block ×5, first 2 shown]
	v_add_f64 v[16:17], v[16:17], -v[28:29]
	v_fma_f64 v[0:1], v[0:1], -0.5, v[48:49]
	v_fma_f64 v[6:7], v[2:3], s[14:15], v[0:1]
	v_fma_f64 v[0:1], v[2:3], s[4:5], v[0:1]
	v_fma_f64 v[6:7], v[10:11], s[6:7], v[6:7]
	v_fma_f64 v[0:1], v[10:11], s[8:9], v[0:1]
	v_fma_f64 v[8:9], v[12:13], s[2:3], v[6:7]
	v_add_f64 v[6:7], v[20:21], v[24:25]
	v_fma_f64 v[0:1], v[12:13], s[2:3], v[0:1]
	v_fma_f64 v[6:7], v[6:7], -0.5, v[48:49]
	v_add_f64 v[48:49], v[28:29], -v[24:25]
	v_add_f64 v[28:29], v[40:41], -v[44:45]
	v_fma_f64 v[12:13], v[10:11], s[4:5], v[6:7]
	v_fma_f64 v[6:7], v[10:11], s[14:15], v[6:7]
	v_add_f64 v[14:15], v[14:15], v[48:49]
	v_fma_f64 v[12:13], v[2:3], s[6:7], v[12:13]
	v_fma_f64 v[2:3], v[2:3], s[8:9], v[6:7]
	;; [unrolled: 1-line block ×4, first 2 shown]
	v_add_f64 v[2:3], v[50:51], v[22:23]
	v_add_f64 v[14:15], v[20:21], -v[24:25]
	v_add_f64 v[20:21], v[22:23], -v[18:19]
	;; [unrolled: 1-line block ×3, first 2 shown]
	v_add_f64 v[2:3], v[2:3], v[18:19]
	v_add_f64 v[20:21], v[20:21], v[24:25]
	;; [unrolled: 1-line block ×5, first 2 shown]
	v_add_f64 v[18:19], v[18:19], -v[22:23]
	v_fma_f64 v[2:3], v[2:3], -0.5, v[50:51]
	v_fma_f64 v[10:11], v[14:15], s[4:5], v[2:3]
	v_fma_f64 v[2:3], v[14:15], s[14:15], v[2:3]
	;; [unrolled: 1-line block ×6, first 2 shown]
	v_add_f64 v[20:21], v[22:23], v[26:27]
	v_add_f64 v[22:23], v[30:31], -v[26:27]
	v_add_f64 v[26:27], v[34:35], -v[46:47]
	;; [unrolled: 1-line block ×3, first 2 shown]
	v_fma_f64 v[20:21], v[20:21], -0.5, v[50:51]
	v_add_f64 v[18:19], v[18:19], v[22:23]
	v_fma_f64 v[24:25], v[16:17], s[14:15], v[20:21]
	v_fma_f64 v[16:17], v[16:17], s[4:5], v[20:21]
	;; [unrolled: 1-line block ×4, first 2 shown]
	v_add_f64 v[16:17], v[52:53], v[36:37]
	v_fma_f64 v[50:51], v[18:19], s[2:3], v[24:25]
	v_fma_f64 v[14:15], v[18:19], s[2:3], v[14:15]
	v_add_f64 v[16:17], v[16:17], v[32:33]
	v_add_f64 v[18:19], v[38:39], -v[42:43]
	v_add_f64 v[24:25], v[36:37], -v[32:33]
	v_add_f64 v[16:17], v[16:17], v[44:45]
	v_add_f64 v[28:29], v[24:25], v[28:29]
	;; [unrolled: 1-line block ×4, first 2 shown]
	v_add_f64 v[32:33], v[32:33], -v[44:45]
	v_fma_f64 v[16:17], v[16:17], -0.5, v[52:53]
	v_fma_f64 v[22:23], v[18:19], s[14:15], v[16:17]
	v_fma_f64 v[16:17], v[18:19], s[4:5], v[16:17]
	;; [unrolled: 1-line block ×5, first 2 shown]
	v_add_f64 v[22:23], v[36:37], v[40:41]
	v_fma_f64 v[16:17], v[28:29], s[2:3], v[16:17]
	v_fma_f64 v[22:23], v[22:23], -0.5, v[52:53]
	v_add_f64 v[52:53], v[44:45], -v[40:41]
	v_fma_f64 v[28:29], v[26:27], s[4:5], v[22:23]
	v_fma_f64 v[22:23], v[26:27], s[14:15], v[22:23]
	v_add_f64 v[30:31], v[30:31], v[52:53]
	v_fma_f64 v[28:29], v[18:19], s[6:7], v[28:29]
	v_fma_f64 v[18:19], v[18:19], s[8:9], v[22:23]
	;; [unrolled: 1-line block ×4, first 2 shown]
	v_add_f64 v[18:19], v[54:55], v[38:39]
	v_add_f64 v[30:31], v[36:37], -v[40:41]
	v_add_f64 v[36:37], v[38:39], -v[34:35]
	;; [unrolled: 1-line block ×3, first 2 shown]
	v_add_f64 v[18:19], v[18:19], v[34:35]
	v_add_f64 v[36:37], v[36:37], v[40:41]
	;; [unrolled: 1-line block ×5, first 2 shown]
	v_add_f64 v[34:35], v[34:35], -v[38:39]
	v_fma_f64 v[18:19], v[18:19], -0.5, v[54:55]
	v_fma_f64 v[26:27], v[30:31], s[4:5], v[18:19]
	v_fma_f64 v[18:19], v[30:31], s[14:15], v[18:19]
	;; [unrolled: 1-line block ×6, first 2 shown]
	v_add_f64 v[36:37], v[38:39], v[42:43]
	v_add_f64 v[38:39], v[46:47], -v[42:43]
	v_fma_f64 v[36:37], v[36:37], -0.5, v[54:55]
	v_add_f64 v[34:35], v[34:35], v[38:39]
	v_fma_f64 v[40:41], v[32:33], s[14:15], v[36:37]
	v_fma_f64 v[32:33], v[32:33], s[4:5], v[36:37]
	;; [unrolled: 1-line block ×4, first 2 shown]
	buffer_load_dword v32, off, s[24:27], 0 offset:688 ; 4-byte Folded Reload
	s_waitcnt vmcnt(0)
	ds_write_b128 v32, v[108:111]
	ds_write_b128 v32, v[104:107] offset:16
	ds_write_b128 v32, v[96:99] offset:32
	ds_write_b128 v32, v[100:103] offset:48
	ds_write_b128 v32, v[112:115] offset:64
	buffer_load_dword v32, off, s[24:27], 0 offset:616 ; 4-byte Folded Reload
	s_waitcnt vmcnt(0)
	ds_write_b128 v32, v[88:91]
	ds_write_b128 v32, v[84:87] offset:16
	ds_write_b128 v32, v[72:75] offset:32
	ds_write_b128 v32, v[76:79] offset:48
	ds_write_b128 v32, v[92:95] offset:64
	;; [unrolled: 7-line block ×4, first 2 shown]
	buffer_load_dword v0, off, s[24:27], 0 offset:412 ; 4-byte Folded Reload
	v_fma_f64 v[54:55], v[34:35], s[2:3], v[40:41]
	v_fma_f64 v[30:31], v[34:35], s[2:3], v[30:31]
	s_waitcnt vmcnt(0)
	ds_write_b128 v0, v[20:23]
	ds_write_b128 v0, v[24:27] offset:16
	ds_write_b128 v0, v[52:55] offset:32
	;; [unrolled: 1-line block ×4, first 2 shown]
	s_waitcnt lgkmcnt(0)
	s_barrier
	ds_read_b128 v[4:7], v116
	ds_read_b128 v[20:23], v116 offset:10000
	ds_read_b128 v[24:27], v116 offset:20000
	ds_read_b128 v[28:31], v116 offset:30000
	ds_read_b128 v[32:35], v116 offset:40000
	ds_read_b128 v[0:3], v116 offset:2000
	ds_read_b128 v[36:39], v116 offset:12000
	ds_read_b128 v[40:43], v116 offset:22000
	ds_read_b128 v[44:47], v116 offset:32000
	ds_read_b128 v[48:51], v116 offset:42000
	ds_read_b128 v[16:19], v116 offset:4000
	ds_read_b128 v[52:55], v116 offset:14000
	ds_read_b128 v[56:59], v116 offset:24000
	ds_read_b128 v[60:63], v116 offset:34000
	ds_read_b128 v[64:67], v116 offset:44000
	ds_read_b128 v[8:11], v116 offset:6000
	ds_read_b128 v[68:71], v116 offset:16000
	ds_read_b128 v[72:75], v116 offset:26000
	ds_read_b128 v[76:79], v116 offset:36000
	ds_read_b128 v[80:83], v116 offset:46000
	ds_read_b128 v[12:15], v116 offset:8000
	ds_read_b128 v[84:87], v116 offset:18000
	ds_read_b128 v[88:91], v116 offset:28000
	ds_read_b128 v[92:95], v116 offset:38000
	ds_read_b128 v[96:99], v116 offset:48000
	buffer_load_dword v102, off, s[24:27], 0 offset:464 ; 4-byte Folded Reload
	buffer_load_dword v103, off, s[24:27], 0 offset:468 ; 4-byte Folded Reload
	;; [unrolled: 1-line block ×4, first 2 shown]
	s_waitcnt vmcnt(0) lgkmcnt(14)
	v_mul_f64 v[100:101], v[104:105], v[22:23]
	v_fma_f64 v[100:101], v[102:103], v[20:21], v[100:101]
	v_mul_f64 v[20:21], v[104:105], v[20:21]
	v_fma_f64 v[20:21], v[102:103], v[22:23], -v[20:21]
	buffer_load_dword v102, off, s[24:27], 0 offset:448 ; 4-byte Folded Reload
	buffer_load_dword v103, off, s[24:27], 0 offset:452 ; 4-byte Folded Reload
	buffer_load_dword v104, off, s[24:27], 0 offset:456 ; 4-byte Folded Reload
	buffer_load_dword v105, off, s[24:27], 0 offset:460 ; 4-byte Folded Reload
	s_waitcnt vmcnt(0)
	v_mul_f64 v[22:23], v[104:105], v[26:27]
	v_fma_f64 v[22:23], v[102:103], v[24:25], v[22:23]
	v_mul_f64 v[24:25], v[104:105], v[24:25]
	v_fma_f64 v[24:25], v[102:103], v[26:27], -v[24:25]
	buffer_load_dword v102, off, s[24:27], 0 offset:432 ; 4-byte Folded Reload
	buffer_load_dword v103, off, s[24:27], 0 offset:436 ; 4-byte Folded Reload
	buffer_load_dword v104, off, s[24:27], 0 offset:440 ; 4-byte Folded Reload
	buffer_load_dword v105, off, s[24:27], 0 offset:444 ; 4-byte Folded Reload
	s_waitcnt vmcnt(0)
	;; [unrolled: 9-line block ×4, first 2 shown]
	v_mul_f64 v[34:35], v[104:105], v[38:39]
	v_fma_f64 v[34:35], v[102:103], v[36:37], v[34:35]
	v_mul_f64 v[36:37], v[104:105], v[36:37]
	v_fma_f64 v[36:37], v[102:103], v[38:39], -v[36:37]
	buffer_load_dword v102, off, s[24:27], 0 offset:516 ; 4-byte Folded Reload
	buffer_load_dword v103, off, s[24:27], 0 offset:520 ; 4-byte Folded Reload
	;; [unrolled: 1-line block ×8, first 2 shown]
	s_waitcnt vmcnt(4)
	v_mul_f64 v[38:39], v[104:105], v[42:43]
	v_fma_f64 v[38:39], v[102:103], v[40:41], v[38:39]
	v_mul_f64 v[40:41], v[104:105], v[40:41]
	v_fma_f64 v[102:103], v[102:103], v[42:43], -v[40:41]
	s_waitcnt vmcnt(0)
	v_mul_f64 v[40:41], v[108:109], v[46:47]
	v_add_f64 v[42:43], v[22:23], v[26:27]
	v_fma_f64 v[104:105], v[106:107], v[44:45], v[40:41]
	v_mul_f64 v[40:41], v[108:109], v[44:45]
	v_fma_f64 v[42:43], v[42:43], -0.5, v[4:5]
	v_fma_f64 v[44:45], v[106:107], v[46:47], -v[40:41]
	buffer_load_dword v106, off, s[24:27], 0 offset:484 ; 4-byte Folded Reload
	buffer_load_dword v107, off, s[24:27], 0 offset:488 ; 4-byte Folded Reload
	;; [unrolled: 1-line block ×4, first 2 shown]
	s_waitcnt vmcnt(0)
	v_mul_f64 v[40:41], v[108:109], v[50:51]
	v_fma_f64 v[46:47], v[106:107], v[48:49], v[40:41]
	v_mul_f64 v[40:41], v[108:109], v[48:49]
	buffer_load_dword v108, off, s[24:27], 0 offset:600 ; 4-byte Folded Reload
	buffer_load_dword v109, off, s[24:27], 0 offset:604 ; 4-byte Folded Reload
	;; [unrolled: 1-line block ×4, first 2 shown]
	v_fma_f64 v[48:49], v[106:107], v[50:51], -v[40:41]
	s_waitcnt vmcnt(0) lgkmcnt(13)
	v_mul_f64 v[40:41], v[110:111], v[54:55]
	v_fma_f64 v[106:107], v[108:109], v[52:53], v[40:41]
	v_mul_f64 v[40:41], v[110:111], v[52:53]
	buffer_load_dword v50, off, s[24:27], 0 offset:584 ; 4-byte Folded Reload
	buffer_load_dword v51, off, s[24:27], 0 offset:588 ; 4-byte Folded Reload
	;; [unrolled: 1-line block ×4, first 2 shown]
	v_fma_f64 v[108:109], v[108:109], v[54:55], -v[40:41]
	v_add_f64 v[54:55], v[24:25], -v[28:29]
	s_waitcnt vmcnt(0) lgkmcnt(12)
	v_mul_f64 v[40:41], v[52:53], v[58:59]
	v_fma_f64 v[110:111], v[50:51], v[56:57], v[40:41]
	v_mul_f64 v[40:41], v[52:53], v[56:57]
	v_add_f64 v[56:57], v[100:101], -v[22:23]
	v_fma_f64 v[112:113], v[50:51], v[58:59], -v[40:41]
	buffer_load_dword v50, off, s[24:27], 0 offset:568 ; 4-byte Folded Reload
	buffer_load_dword v51, off, s[24:27], 0 offset:572 ; 4-byte Folded Reload
	;; [unrolled: 1-line block ×4, first 2 shown]
	s_waitcnt vmcnt(0) lgkmcnt(11)
	v_mul_f64 v[40:41], v[52:53], v[62:63]
	v_fma_f64 v[58:59], v[50:51], v[60:61], v[40:41]
	v_mul_f64 v[40:41], v[52:53], v[60:61]
	v_fma_f64 v[60:61], v[50:51], v[62:63], -v[40:41]
	buffer_load_dword v50, off, s[24:27], 0 offset:552 ; 4-byte Folded Reload
	buffer_load_dword v51, off, s[24:27], 0 offset:556 ; 4-byte Folded Reload
	;; [unrolled: 1-line block ×4, first 2 shown]
	s_waitcnt vmcnt(0) lgkmcnt(10)
	v_mul_f64 v[40:41], v[52:53], v[66:67]
	v_fma_f64 v[62:63], v[50:51], v[64:65], v[40:41]
	v_mul_f64 v[40:41], v[52:53], v[64:65]
	v_add_f64 v[64:65], v[30:31], -v[26:27]
	v_fma_f64 v[114:115], v[50:51], v[66:67], -v[40:41]
	buffer_load_dword v50, off, s[24:27], 0 offset:824 ; 4-byte Folded Reload
	buffer_load_dword v51, off, s[24:27], 0 offset:828 ; 4-byte Folded Reload
	;; [unrolled: 1-line block ×4, first 2 shown]
	v_add_f64 v[56:57], v[56:57], v[64:65]
	v_add_f64 v[64:65], v[26:27], -v[30:31]
	s_waitcnt vmcnt(0) lgkmcnt(8)
	v_mul_f64 v[40:41], v[52:53], v[70:71]
	v_fma_f64 v[117:118], v[50:51], v[68:69], v[40:41]
	v_mul_f64 v[40:41], v[52:53], v[68:69]
	v_fma_f64 v[119:120], v[50:51], v[70:71], -v[40:41]
	buffer_load_dword v50, off, s[24:27], 0 offset:840 ; 4-byte Folded Reload
	buffer_load_dword v51, off, s[24:27], 0 offset:844 ; 4-byte Folded Reload
	buffer_load_dword v52, off, s[24:27], 0 offset:848 ; 4-byte Folded Reload
	buffer_load_dword v53, off, s[24:27], 0 offset:852 ; 4-byte Folded Reload
	s_waitcnt vmcnt(0) lgkmcnt(7)
	v_mul_f64 v[40:41], v[52:53], v[74:75]
	v_fma_f64 v[121:122], v[50:51], v[72:73], v[40:41]
	v_mul_f64 v[40:41], v[52:53], v[72:73]
	v_fma_f64 v[123:124], v[50:51], v[74:75], -v[40:41]
	buffer_load_dword v50, off, s[24:27], 0 offset:856 ; 4-byte Folded Reload
	buffer_load_dword v51, off, s[24:27], 0 offset:860 ; 4-byte Folded Reload
	buffer_load_dword v52, off, s[24:27], 0 offset:864 ; 4-byte Folded Reload
	buffer_load_dword v53, off, s[24:27], 0 offset:868 ; 4-byte Folded Reload
	;; [unrolled: 9-line block ×3, first 2 shown]
	s_waitcnt vmcnt(0) lgkmcnt(0)
	s_barrier
	v_mul_f64 v[40:41], v[52:53], v[82:83]
	v_fma_f64 v[129:130], v[50:51], v[80:81], v[40:41]
	v_mul_f64 v[40:41], v[52:53], v[80:81]
	v_fma_f64 v[80:81], v[50:51], v[82:83], -v[40:41]
	v_mul_f64 v[40:41], v[186:187], v[86:87]
	v_add_f64 v[50:51], v[20:21], -v[32:33]
	v_fma_f64 v[82:83], v[184:185], v[84:85], v[40:41]
	v_mul_f64 v[40:41], v[186:187], v[84:85]
	v_fma_f64 v[52:53], v[50:51], s[14:15], v[42:43]
	v_fma_f64 v[42:43], v[50:51], s[4:5], v[42:43]
	v_fma_f64 v[84:85], v[184:185], v[86:87], -v[40:41]
	v_mul_f64 v[40:41], v[210:211], v[90:91]
	v_fma_f64 v[52:53], v[54:55], s[6:7], v[52:53]
	v_fma_f64 v[42:43], v[54:55], s[8:9], v[42:43]
	;; [unrolled: 1-line block ×3, first 2 shown]
	v_mul_f64 v[40:41], v[210:211], v[88:89]
	v_fma_f64 v[88:89], v[208:209], v[90:91], -v[40:41]
	v_mul_f64 v[40:41], v[222:223], v[94:95]
	v_fma_f64 v[90:91], v[220:221], v[92:93], v[40:41]
	v_mul_f64 v[40:41], v[222:223], v[92:93]
	v_fma_f64 v[92:93], v[220:221], v[94:95], -v[40:41]
	v_mul_f64 v[40:41], v[254:255], v[98:99]
	v_fma_f64 v[220:221], v[56:57], s[2:3], v[52:53]
	v_fma_f64 v[52:53], v[56:57], s[2:3], v[42:43]
	v_add_f64 v[42:43], v[100:101], v[30:31]
	v_add_f64 v[56:57], v[22:23], -v[100:101]
	v_fma_f64 v[94:95], v[252:253], v[96:97], v[40:41]
	v_mul_f64 v[40:41], v[254:255], v[96:97]
	v_fma_f64 v[42:43], v[42:43], -0.5, v[4:5]
	v_add_f64 v[56:57], v[56:57], v[64:65]
	v_fma_f64 v[96:97], v[252:253], v[98:99], -v[40:41]
	v_add_f64 v[40:41], v[4:5], v[100:101]
	v_fma_f64 v[4:5], v[54:55], s[4:5], v[42:43]
	v_fma_f64 v[42:43], v[54:55], s[14:15], v[42:43]
	v_add_f64 v[98:99], v[90:91], -v[94:95]
	v_add_f64 v[40:41], v[40:41], v[22:23]
	v_fma_f64 v[4:5], v[50:51], s[6:7], v[4:5]
	v_fma_f64 v[42:43], v[50:51], s[8:9], v[42:43]
	v_add_f64 v[50:51], v[24:25], v[28:29]
	v_add_f64 v[22:23], v[22:23], -v[26:27]
	v_add_f64 v[40:41], v[40:41], v[26:27]
	v_fma_f64 v[4:5], v[56:57], s[2:3], v[4:5]
	v_fma_f64 v[252:253], v[56:57], s[2:3], v[42:43]
	v_fma_f64 v[50:51], v[50:51], -0.5, v[6:7]
	v_add_f64 v[56:57], v[32:33], -v[28:29]
	v_add_f64 v[42:43], v[6:7], v[20:21]
	v_add_f64 v[40:41], v[40:41], v[30:31]
	v_add_f64 v[30:31], v[100:101], -v[30:31]
	v_add_f64 v[42:43], v[42:43], v[24:25]
	v_fma_f64 v[54:55], v[30:31], s[4:5], v[50:51]
	v_add_f64 v[42:43], v[42:43], v[28:29]
	v_fma_f64 v[26:27], v[22:23], s[8:9], v[54:55]
	v_add_f64 v[54:55], v[20:21], -v[24:25]
	v_add_f64 v[42:43], v[42:43], v[32:33]
	v_add_f64 v[54:55], v[54:55], v[56:57]
	v_fma_f64 v[222:223], v[54:55], s[2:3], v[26:27]
	v_fma_f64 v[26:27], v[30:31], s[14:15], v[50:51]
	;; [unrolled: 1-line block ×4, first 2 shown]
	v_add_f64 v[26:27], v[20:21], v[32:33]
	v_add_f64 v[20:21], v[24:25], -v[20:21]
	v_add_f64 v[24:25], v[28:29], -v[32:33]
	;; [unrolled: 1-line block ×3, first 2 shown]
	v_fma_f64 v[26:27], v[26:27], -0.5, v[6:7]
	v_add_f64 v[20:21], v[20:21], v[24:25]
	v_fma_f64 v[6:7], v[22:23], s[14:15], v[26:27]
	v_fma_f64 v[22:23], v[22:23], s[4:5], v[26:27]
	v_add_f64 v[26:27], v[102:103], -v[44:45]
	v_fma_f64 v[6:7], v[30:31], s[8:9], v[6:7]
	v_fma_f64 v[22:23], v[30:31], s[6:7], v[22:23]
	v_add_f64 v[30:31], v[46:47], -v[104:105]
	v_fma_f64 v[6:7], v[20:21], s[2:3], v[6:7]
	v_fma_f64 v[254:255], v[20:21], s[2:3], v[22:23]
	v_add_f64 v[20:21], v[0:1], v[34:35]
	v_add_f64 v[22:23], v[36:37], -v[48:49]
	v_add_f64 v[28:29], v[28:29], v[30:31]
	v_add_f64 v[30:31], v[48:49], -v[44:45]
	v_add_f64 v[20:21], v[20:21], v[38:39]
	v_add_f64 v[20:21], v[20:21], v[104:105]
	;; [unrolled: 1-line block ×4, first 2 shown]
	v_fma_f64 v[20:21], v[20:21], -0.5, v[0:1]
	v_fma_f64 v[24:25], v[22:23], s[14:15], v[20:21]
	v_fma_f64 v[20:21], v[22:23], s[4:5], v[20:21]
	;; [unrolled: 1-line block ×6, first 2 shown]
	v_add_f64 v[20:21], v[34:35], v[46:47]
	v_add_f64 v[24:25], v[38:39], -v[34:35]
	v_add_f64 v[28:29], v[104:105], -v[46:47]
	v_fma_f64 v[20:21], v[20:21], -0.5, v[0:1]
	v_add_f64 v[24:25], v[24:25], v[28:29]
	v_add_f64 v[28:29], v[36:37], -v[102:103]
	v_fma_f64 v[0:1], v[26:27], s[4:5], v[20:21]
	v_fma_f64 v[20:21], v[26:27], s[14:15], v[20:21]
	v_add_f64 v[26:27], v[38:39], -v[104:105]
	v_add_f64 v[28:29], v[28:29], v[30:31]
	v_add_f64 v[30:31], v[62:63], -v[58:59]
	v_add_f64 v[38:39], v[127:128], -v[80:81]
	v_fma_f64 v[0:1], v[22:23], s[6:7], v[0:1]
	v_fma_f64 v[20:21], v[22:23], s[8:9], v[20:21]
	v_add_f64 v[22:23], v[34:35], -v[46:47]
	v_add_f64 v[34:35], v[121:122], -v[125:126]
	v_fma_f64 v[0:1], v[24:25], s[2:3], v[0:1]
	v_fma_f64 v[76:77], v[24:25], s[2:3], v[20:21]
	v_add_f64 v[20:21], v[2:3], v[36:37]
	v_add_f64 v[20:21], v[20:21], v[102:103]
	;; [unrolled: 1-line block ×5, first 2 shown]
	v_fma_f64 v[20:21], v[20:21], -0.5, v[2:3]
	v_fma_f64 v[24:25], v[22:23], s[4:5], v[20:21]
	v_fma_f64 v[20:21], v[22:23], s[14:15], v[20:21]
	;; [unrolled: 1-line block ×6, first 2 shown]
	v_add_f64 v[20:21], v[36:37], v[48:49]
	v_add_f64 v[24:25], v[102:103], -v[36:37]
	v_add_f64 v[28:29], v[44:45], -v[48:49]
	v_fma_f64 v[20:21], v[20:21], -0.5, v[2:3]
	v_add_f64 v[24:25], v[24:25], v[28:29]
	v_add_f64 v[28:29], v[106:107], -v[110:111]
	v_fma_f64 v[2:3], v[26:27], s[14:15], v[20:21]
	v_fma_f64 v[20:21], v[26:27], s[4:5], v[20:21]
	v_add_f64 v[26:27], v[112:113], -v[60:61]
	v_add_f64 v[28:29], v[28:29], v[30:31]
	v_add_f64 v[30:31], v[125:126], -v[129:130]
	v_fma_f64 v[2:3], v[22:23], s[8:9], v[2:3]
	v_fma_f64 v[20:21], v[22:23], s[6:7], v[20:21]
	v_add_f64 v[22:23], v[108:109], -v[114:115]
	v_fma_f64 v[2:3], v[24:25], s[2:3], v[2:3]
	v_fma_f64 v[78:79], v[24:25], s[2:3], v[20:21]
	v_add_f64 v[20:21], v[16:17], v[106:107]
	v_add_f64 v[20:21], v[20:21], v[110:111]
	;; [unrolled: 1-line block ×5, first 2 shown]
	v_fma_f64 v[20:21], v[20:21], -0.5, v[16:17]
	v_fma_f64 v[24:25], v[22:23], s[14:15], v[20:21]
	v_fma_f64 v[20:21], v[22:23], s[4:5], v[20:21]
	;; [unrolled: 1-line block ×6, first 2 shown]
	v_add_f64 v[20:21], v[106:107], v[62:63]
	v_add_f64 v[24:25], v[110:111], -v[106:107]
	v_add_f64 v[28:29], v[58:59], -v[62:63]
	v_fma_f64 v[16:17], v[20:21], -0.5, v[16:17]
	v_add_f64 v[24:25], v[24:25], v[28:29]
	v_add_f64 v[28:29], v[114:115], -v[60:61]
	v_fma_f64 v[20:21], v[26:27], s[4:5], v[16:17]
	v_fma_f64 v[16:17], v[26:27], s[14:15], v[16:17]
	v_add_f64 v[26:27], v[108:109], -v[112:113]
	v_fma_f64 v[20:21], v[22:23], s[6:7], v[20:21]
	v_fma_f64 v[16:17], v[22:23], s[8:9], v[16:17]
	v_add_f64 v[26:27], v[26:27], v[28:29]
	v_add_f64 v[28:29], v[129:130], -v[125:126]
	v_fma_f64 v[208:209], v[24:25], s[2:3], v[20:21]
	v_fma_f64 v[184:185], v[24:25], s[2:3], v[16:17]
	v_add_f64 v[16:17], v[18:19], v[108:109]
	v_add_f64 v[20:21], v[106:107], -v[62:63]
	v_add_f64 v[24:25], v[110:111], -v[58:59]
	v_add_f64 v[62:63], v[88:89], -v[92:93]
	v_add_f64 v[16:17], v[16:17], v[112:113]
	v_add_f64 v[16:17], v[16:17], v[60:61]
	;; [unrolled: 1-line block ×4, first 2 shown]
	v_fma_f64 v[16:17], v[16:17], -0.5, v[18:19]
	v_fma_f64 v[22:23], v[20:21], s[4:5], v[16:17]
	v_fma_f64 v[16:17], v[20:21], s[14:15], v[16:17]
	;; [unrolled: 1-line block ×6, first 2 shown]
	v_add_f64 v[16:17], v[108:109], v[114:115]
	v_add_f64 v[22:23], v[112:113], -v[108:109]
	v_add_f64 v[26:27], v[60:61], -v[114:115]
	v_fma_f64 v[16:17], v[16:17], -0.5, v[18:19]
	v_add_f64 v[22:23], v[22:23], v[26:27]
	v_add_f64 v[26:27], v[117:118], -v[121:122]
	v_fma_f64 v[18:19], v[24:25], s[14:15], v[16:17]
	v_fma_f64 v[16:17], v[24:25], s[4:5], v[16:17]
	v_add_f64 v[26:27], v[26:27], v[28:29]
	v_fma_f64 v[18:19], v[20:21], s[8:9], v[18:19]
	v_fma_f64 v[16:17], v[20:21], s[6:7], v[16:17]
	;; [unrolled: 1-line block ×4, first 2 shown]
	v_add_f64 v[16:17], v[8:9], v[117:118]
	v_add_f64 v[18:19], v[119:120], -v[80:81]
	v_add_f64 v[22:23], v[123:124], -v[127:128]
	v_add_f64 v[16:17], v[16:17], v[121:122]
	v_add_f64 v[16:17], v[16:17], v[125:126]
	;; [unrolled: 1-line block ×4, first 2 shown]
	v_fma_f64 v[16:17], v[16:17], -0.5, v[8:9]
	v_fma_f64 v[20:21], v[18:19], s[14:15], v[16:17]
	v_fma_f64 v[16:17], v[18:19], s[4:5], v[16:17]
	;; [unrolled: 1-line block ×6, first 2 shown]
	v_add_f64 v[16:17], v[117:118], v[129:130]
	v_add_f64 v[26:27], v[121:122], -v[117:118]
	v_fma_f64 v[8:9], v[16:17], -0.5, v[8:9]
	v_add_f64 v[26:27], v[26:27], v[30:31]
	v_add_f64 v[30:31], v[80:81], -v[127:128]
	v_fma_f64 v[16:17], v[22:23], s[4:5], v[8:9]
	v_fma_f64 v[8:9], v[22:23], s[14:15], v[8:9]
	v_add_f64 v[22:23], v[119:120], -v[123:124]
	v_fma_f64 v[16:17], v[18:19], s[6:7], v[16:17]
	v_fma_f64 v[8:9], v[18:19], s[8:9], v[8:9]
	v_add_f64 v[22:23], v[22:23], v[30:31]
	v_fma_f64 v[36:37], v[26:27], s[2:3], v[16:17]
	v_fma_f64 v[32:33], v[26:27], s[2:3], v[8:9]
	v_add_f64 v[8:9], v[10:11], v[119:120]
	v_add_f64 v[16:17], v[117:118], -v[129:130]
	v_add_f64 v[8:9], v[8:9], v[123:124]
	v_add_f64 v[8:9], v[8:9], v[127:128]
	;; [unrolled: 1-line block ×4, first 2 shown]
	v_fma_f64 v[8:9], v[8:9], -0.5, v[10:11]
	v_fma_f64 v[18:19], v[16:17], s[4:5], v[8:9]
	v_fma_f64 v[8:9], v[16:17], s[14:15], v[8:9]
	v_fma_f64 v[18:19], v[34:35], s[8:9], v[18:19]
	v_fma_f64 v[8:9], v[34:35], s[6:7], v[8:9]
	v_fma_f64 v[30:31], v[22:23], s[2:3], v[18:19]
	v_fma_f64 v[22:23], v[22:23], s[2:3], v[8:9]
	v_add_f64 v[8:9], v[119:120], v[80:81]
	v_add_f64 v[18:19], v[123:124], -v[119:120]
	v_add_f64 v[80:81], v[94:95], -v[90:91]
	v_fma_f64 v[8:9], v[8:9], -0.5, v[10:11]
	v_add_f64 v[18:19], v[18:19], v[38:39]
	v_fma_f64 v[10:11], v[34:35], s[14:15], v[8:9]
	v_fma_f64 v[8:9], v[34:35], s[4:5], v[8:9]
	;; [unrolled: 1-line block ×4, first 2 shown]
	v_add_f64 v[16:17], v[82:83], -v[86:87]
	v_fma_f64 v[38:39], v[18:19], s[2:3], v[10:11]
	v_fma_f64 v[34:35], v[18:19], s[2:3], v[8:9]
	v_add_f64 v[8:9], v[12:13], v[82:83]
	v_add_f64 v[18:19], v[84:85], -v[96:97]
	v_add_f64 v[16:17], v[16:17], v[80:81]
	ds_write_b128 v139, v[40:43]
	ds_write_b128 v139, v[220:223] offset:80
	ds_write_b128 v139, v[4:7] offset:160
	ds_write_b128 v139, v[252:255] offset:240
	ds_write_b128 v139, v[52:55] offset:320
	ds_write_b128 v149, v[68:71]
	ds_write_b128 v149, v[72:75] offset:80
	ds_write_b128 v149, v[0:3] offset:160
	ds_write_b128 v149, v[76:79] offset:240
	ds_write_b128 v149, v[64:67] offset:320
	;; [unrolled: 5-line block ×4, first 2 shown]
	buffer_load_dword v0, off, s[24:27], 0 offset:620 ; 4-byte Folded Reload
	v_add_f64 v[8:9], v[8:9], v[86:87]
	v_add_f64 v[8:9], v[8:9], v[90:91]
	;; [unrolled: 1-line block ×4, first 2 shown]
	v_fma_f64 v[10:11], v[8:9], -0.5, v[12:13]
	v_fma_f64 v[8:9], v[18:19], s[14:15], v[10:11]
	v_fma_f64 v[10:11], v[18:19], s[4:5], v[10:11]
	;; [unrolled: 1-line block ×6, first 2 shown]
	v_add_f64 v[10:11], v[82:83], v[94:95]
	v_add_f64 v[16:17], v[86:87], -v[82:83]
	v_add_f64 v[94:95], v[82:83], -v[94:95]
	v_add_f64 v[86:87], v[86:87], -v[90:91]
	v_add_f64 v[82:83], v[84:85], -v[88:89]
	v_add_f64 v[90:91], v[96:97], -v[92:93]
	v_fma_f64 v[10:11], v[10:11], -0.5, v[12:13]
	v_add_f64 v[98:99], v[16:17], v[98:99]
	v_add_f64 v[82:83], v[82:83], v[90:91]
	v_fma_f64 v[12:13], v[62:63], s[4:5], v[10:11]
	v_fma_f64 v[10:11], v[62:63], s[14:15], v[10:11]
	;; [unrolled: 1-line block ×6, first 2 shown]
	v_add_f64 v[10:11], v[14:15], v[84:85]
	v_add_f64 v[10:11], v[10:11], v[88:89]
	;; [unrolled: 1-line block ×5, first 2 shown]
	v_fma_f64 v[18:19], v[10:11], -0.5, v[14:15]
	v_fma_f64 v[10:11], v[94:95], s[4:5], v[18:19]
	v_fma_f64 v[18:19], v[94:95], s[14:15], v[18:19]
	;; [unrolled: 1-line block ×6, first 2 shown]
	v_add_f64 v[18:19], v[84:85], v[96:97]
	v_add_f64 v[84:85], v[88:89], -v[84:85]
	v_add_f64 v[88:89], v[92:93], -v[96:97]
	v_fma_f64 v[14:15], v[18:19], -0.5, v[14:15]
	v_add_f64 v[84:85], v[84:85], v[88:89]
	v_fma_f64 v[18:19], v[86:87], s[14:15], v[14:15]
	v_fma_f64 v[14:15], v[86:87], s[4:5], v[14:15]
	;; [unrolled: 1-line block ×6, first 2 shown]
	s_waitcnt vmcnt(0)
	ds_write_b128 v0, v[60:63]
	ds_write_b128 v0, v[8:11] offset:80
	ds_write_b128 v0, v[16:19] offset:160
	;; [unrolled: 1-line block ×4, first 2 shown]
	s_waitcnt lgkmcnt(0)
	s_barrier
	ds_read_b128 v[16:19], v116
	ds_read_b128 v[20:23], v116 offset:10000
	ds_read_b128 v[24:27], v116 offset:20000
	;; [unrolled: 1-line block ×24, first 2 shown]
	buffer_load_dword v102, off, s[24:27], 0 offset:672 ; 4-byte Folded Reload
	buffer_load_dword v103, off, s[24:27], 0 offset:676 ; 4-byte Folded Reload
	;; [unrolled: 1-line block ×4, first 2 shown]
	s_waitcnt vmcnt(0) lgkmcnt(14)
	v_mul_f64 v[100:101], v[104:105], v[22:23]
	v_fma_f64 v[100:101], v[102:103], v[20:21], v[100:101]
	v_mul_f64 v[20:21], v[104:105], v[20:21]
	v_fma_f64 v[20:21], v[102:103], v[22:23], -v[20:21]
	buffer_load_dword v102, off, s[24:27], 0 offset:656 ; 4-byte Folded Reload
	buffer_load_dword v103, off, s[24:27], 0 offset:660 ; 4-byte Folded Reload
	buffer_load_dword v104, off, s[24:27], 0 offset:664 ; 4-byte Folded Reload
	buffer_load_dword v105, off, s[24:27], 0 offset:668 ; 4-byte Folded Reload
	s_waitcnt vmcnt(0)
	v_mul_f64 v[22:23], v[104:105], v[26:27]
	v_fma_f64 v[22:23], v[102:103], v[24:25], v[22:23]
	v_mul_f64 v[24:25], v[104:105], v[24:25]
	v_fma_f64 v[24:25], v[102:103], v[26:27], -v[24:25]
	buffer_load_dword v102, off, s[24:27], 0 offset:640 ; 4-byte Folded Reload
	buffer_load_dword v103, off, s[24:27], 0 offset:644 ; 4-byte Folded Reload
	buffer_load_dword v104, off, s[24:27], 0 offset:648 ; 4-byte Folded Reload
	buffer_load_dword v105, off, s[24:27], 0 offset:652 ; 4-byte Folded Reload
	s_waitcnt vmcnt(0)
	;; [unrolled: 9-line block ×4, first 2 shown]
	v_mul_f64 v[34:35], v[104:105], v[38:39]
	v_fma_f64 v[34:35], v[102:103], v[36:37], v[34:35]
	v_mul_f64 v[36:37], v[104:105], v[36:37]
	v_fma_f64 v[36:37], v[102:103], v[38:39], -v[36:37]
	buffer_load_dword v102, off, s[24:27], 0 offset:712 ; 4-byte Folded Reload
	buffer_load_dword v103, off, s[24:27], 0 offset:716 ; 4-byte Folded Reload
	;; [unrolled: 1-line block ×8, first 2 shown]
	s_waitcnt vmcnt(4)
	v_mul_f64 v[38:39], v[104:105], v[42:43]
	v_fma_f64 v[38:39], v[102:103], v[40:41], v[38:39]
	v_mul_f64 v[40:41], v[104:105], v[40:41]
	v_fma_f64 v[102:103], v[102:103], v[42:43], -v[40:41]
	s_waitcnt vmcnt(0)
	v_mul_f64 v[40:41], v[108:109], v[46:47]
	v_add_f64 v[42:43], v[22:23], v[26:27]
	v_fma_f64 v[104:105], v[106:107], v[44:45], v[40:41]
	v_mul_f64 v[40:41], v[108:109], v[44:45]
	v_fma_f64 v[42:43], v[42:43], -0.5, v[16:17]
	v_fma_f64 v[44:45], v[106:107], v[46:47], -v[40:41]
	buffer_load_dword v106, off, s[24:27], 0 offset:744 ; 4-byte Folded Reload
	buffer_load_dword v107, off, s[24:27], 0 offset:748 ; 4-byte Folded Reload
	;; [unrolled: 1-line block ×4, first 2 shown]
	s_waitcnt vmcnt(0)
	v_mul_f64 v[40:41], v[108:109], v[50:51]
	v_fma_f64 v[46:47], v[106:107], v[48:49], v[40:41]
	v_mul_f64 v[40:41], v[108:109], v[48:49]
	buffer_load_dword v108, off, s[24:27], 0 offset:888 ; 4-byte Folded Reload
	buffer_load_dword v109, off, s[24:27], 0 offset:892 ; 4-byte Folded Reload
	;; [unrolled: 1-line block ×4, first 2 shown]
	v_fma_f64 v[48:49], v[106:107], v[50:51], -v[40:41]
	s_waitcnt vmcnt(0) lgkmcnt(13)
	v_mul_f64 v[40:41], v[110:111], v[54:55]
	v_fma_f64 v[106:107], v[108:109], v[52:53], v[40:41]
	v_mul_f64 v[40:41], v[110:111], v[52:53]
	buffer_load_dword v50, off, s[24:27], 0 offset:904 ; 4-byte Folded Reload
	buffer_load_dword v51, off, s[24:27], 0 offset:908 ; 4-byte Folded Reload
	;; [unrolled: 1-line block ×4, first 2 shown]
	v_fma_f64 v[108:109], v[108:109], v[54:55], -v[40:41]
	v_add_f64 v[54:55], v[24:25], -v[28:29]
	s_waitcnt vmcnt(0) lgkmcnt(12)
	v_mul_f64 v[40:41], v[52:53], v[58:59]
	v_fma_f64 v[110:111], v[50:51], v[56:57], v[40:41]
	v_mul_f64 v[40:41], v[52:53], v[56:57]
	v_add_f64 v[56:57], v[100:101], -v[22:23]
	v_fma_f64 v[112:113], v[50:51], v[58:59], -v[40:41]
	buffer_load_dword v50, off, s[24:27], 0 offset:940 ; 4-byte Folded Reload
	buffer_load_dword v51, off, s[24:27], 0 offset:944 ; 4-byte Folded Reload
	;; [unrolled: 1-line block ×4, first 2 shown]
	s_waitcnt vmcnt(0) lgkmcnt(11)
	v_mul_f64 v[40:41], v[52:53], v[62:63]
	v_fma_f64 v[58:59], v[50:51], v[60:61], v[40:41]
	v_mul_f64 v[40:41], v[52:53], v[60:61]
	v_add_f64 v[60:61], v[30:31], -v[26:27]
	v_fma_f64 v[114:115], v[50:51], v[62:63], -v[40:41]
	buffer_load_dword v50, off, s[24:27], 0 offset:956 ; 4-byte Folded Reload
	buffer_load_dword v51, off, s[24:27], 0 offset:960 ; 4-byte Folded Reload
	buffer_load_dword v52, off, s[24:27], 0 offset:964 ; 4-byte Folded Reload
	buffer_load_dword v53, off, s[24:27], 0 offset:968 ; 4-byte Folded Reload
	v_add_f64 v[56:57], v[56:57], v[60:61]
	v_add_f64 v[60:61], v[26:27], -v[30:31]
	s_waitcnt vmcnt(0) lgkmcnt(10)
	v_mul_f64 v[40:41], v[52:53], v[66:67]
	v_fma_f64 v[117:118], v[50:51], v[64:65], v[40:41]
	v_mul_f64 v[40:41], v[52:53], v[64:65]
	v_fma_f64 v[119:120], v[50:51], v[66:67], -v[40:41]
	buffer_load_dword v50, off, s[24:27], 0 offset:1020 ; 4-byte Folded Reload
	buffer_load_dword v51, off, s[24:27], 0 offset:1024 ; 4-byte Folded Reload
	buffer_load_dword v52, off, s[24:27], 0 offset:1028 ; 4-byte Folded Reload
	buffer_load_dword v53, off, s[24:27], 0 offset:1032 ; 4-byte Folded Reload
	s_waitcnt vmcnt(0) lgkmcnt(8)
	v_mul_f64 v[40:41], v[52:53], v[70:71]
	v_fma_f64 v[121:122], v[50:51], v[68:69], v[40:41]
	v_mul_f64 v[40:41], v[52:53], v[68:69]
	v_fma_f64 v[123:124], v[50:51], v[70:71], -v[40:41]
	buffer_load_dword v50, off, s[24:27], 0 offset:1036 ; 4-byte Folded Reload
	buffer_load_dword v51, off, s[24:27], 0 offset:1040 ; 4-byte Folded Reload
	buffer_load_dword v52, off, s[24:27], 0 offset:1044 ; 4-byte Folded Reload
	buffer_load_dword v53, off, s[24:27], 0 offset:1048 ; 4-byte Folded Reload
	;; [unrolled: 9-line block ×5, first 2 shown]
	s_waitcnt lgkmcnt(3)
	v_mul_f64 v[40:41], v[143:144], v[86:87]
	s_waitcnt vmcnt(0) lgkmcnt(0)
	s_barrier
	v_fma_f64 v[82:83], v[141:142], v[84:85], v[40:41]
	v_mul_f64 v[40:41], v[143:144], v[84:85]
	v_fma_f64 v[84:85], v[141:142], v[86:87], -v[40:41]
	v_mul_f64 v[40:41], v[147:148], v[90:91]
	v_fma_f64 v[86:87], v[145:146], v[88:89], v[40:41]
	v_mul_f64 v[40:41], v[147:148], v[88:89]
	v_fma_f64 v[88:89], v[145:146], v[90:91], -v[40:41]
	v_mul_f64 v[40:41], v[166:167], v[94:95]
	;; [unrolled: 4-line block ×3, first 2 shown]
	v_fma_f64 v[94:95], v[50:51], v[96:97], v[40:41]
	v_mul_f64 v[40:41], v[52:53], v[96:97]
	v_fma_f64 v[96:97], v[50:51], v[98:99], -v[40:41]
	v_add_f64 v[50:51], v[20:21], -v[32:33]
	v_add_f64 v[40:41], v[16:17], v[100:101]
	v_fma_f64 v[52:53], v[50:51], s[14:15], v[42:43]
	v_fma_f64 v[42:43], v[50:51], s[4:5], v[42:43]
	v_add_f64 v[40:41], v[40:41], v[22:23]
	v_fma_f64 v[52:53], v[54:55], s[6:7], v[52:53]
	v_fma_f64 v[42:43], v[54:55], s[8:9], v[42:43]
	;; [unrolled: 3-line block ×3, first 2 shown]
	v_add_f64 v[42:43], v[100:101], v[30:31]
	v_add_f64 v[56:57], v[22:23], -v[100:101]
	v_add_f64 v[40:41], v[40:41], v[30:31]
	v_add_f64 v[30:31], v[100:101], -v[30:31]
	v_add_f64 v[22:23], v[22:23], -v[26:27]
	v_fma_f64 v[16:17], v[42:43], -0.5, v[16:17]
	v_add_f64 v[56:57], v[56:57], v[60:61]
	v_fma_f64 v[42:43], v[54:55], s[4:5], v[16:17]
	v_fma_f64 v[16:17], v[54:55], s[14:15], v[16:17]
	v_add_f64 v[54:55], v[32:33], -v[28:29]
	v_fma_f64 v[42:43], v[50:51], s[6:7], v[42:43]
	v_fma_f64 v[16:17], v[50:51], s[8:9], v[16:17]
	;; [unrolled: 1-line block ×4, first 2 shown]
	v_add_f64 v[16:17], v[18:19], v[20:21]
	v_add_f64 v[16:17], v[16:17], v[24:25]
	v_add_f64 v[16:17], v[16:17], v[28:29]
	v_add_f64 v[42:43], v[16:17], v[32:33]
	v_add_f64 v[16:17], v[24:25], v[28:29]
	v_fma_f64 v[16:17], v[16:17], -0.5, v[18:19]
	v_fma_f64 v[50:51], v[30:31], s[4:5], v[16:17]
	v_fma_f64 v[16:17], v[30:31], s[14:15], v[16:17]
	;; [unrolled: 1-line block ×3, first 2 shown]
	v_add_f64 v[50:51], v[20:21], -v[24:25]
	v_fma_f64 v[16:17], v[22:23], s[6:7], v[16:17]
	v_add_f64 v[50:51], v[50:51], v[54:55]
	v_fma_f64 v[54:55], v[50:51], s[2:3], v[16:17]
	v_add_f64 v[16:17], v[20:21], v[32:33]
	v_add_f64 v[20:21], v[24:25], -v[20:21]
	v_add_f64 v[24:25], v[28:29], -v[32:33]
	v_fma_f64 v[146:147], v[50:51], s[2:3], v[26:27]
	v_add_f64 v[26:27], v[46:47], -v[104:105]
	v_fma_f64 v[16:17], v[16:17], -0.5, v[18:19]
	v_add_f64 v[20:21], v[20:21], v[24:25]
	v_add_f64 v[24:25], v[34:35], -v[38:39]
	v_fma_f64 v[18:19], v[22:23], s[14:15], v[16:17]
	v_fma_f64 v[16:17], v[22:23], s[4:5], v[16:17]
	v_add_f64 v[22:23], v[102:103], -v[44:45]
	v_add_f64 v[24:25], v[24:25], v[26:27]
	v_fma_f64 v[18:19], v[30:31], s[8:9], v[18:19]
	v_fma_f64 v[16:17], v[30:31], s[6:7], v[16:17]
	;; [unrolled: 1-line block ×4, first 2 shown]
	v_add_f64 v[16:17], v[8:9], v[34:35]
	v_add_f64 v[18:19], v[36:37], -v[48:49]
	ds_write_b128 v138, v[40:43]
	ds_write_b128 v138, v[144:147] offset:400
	ds_write_b128 v138, v[164:167] offset:800
	;; [unrolled: 1-line block ×4, first 2 shown]
	buffer_load_dword v40, off, s[24:27], 0 offset:1212 ; 4-byte Folded Reload
	v_add_f64 v[16:17], v[16:17], v[38:39]
	v_add_f64 v[16:17], v[16:17], v[104:105]
	;; [unrolled: 1-line block ×4, first 2 shown]
	v_fma_f64 v[16:17], v[16:17], -0.5, v[8:9]
	v_fma_f64 v[20:21], v[18:19], s[14:15], v[16:17]
	v_fma_f64 v[16:17], v[18:19], s[4:5], v[16:17]
	;; [unrolled: 1-line block ×6, first 2 shown]
	v_add_f64 v[16:17], v[34:35], v[46:47]
	v_add_f64 v[20:21], v[38:39], -v[34:35]
	v_add_f64 v[24:25], v[104:105], -v[46:47]
	v_fma_f64 v[8:9], v[16:17], -0.5, v[8:9]
	v_add_f64 v[20:21], v[20:21], v[24:25]
	v_add_f64 v[24:25], v[48:49], -v[44:45]
	v_fma_f64 v[16:17], v[22:23], s[4:5], v[8:9]
	v_fma_f64 v[8:9], v[22:23], s[14:15], v[8:9]
	v_add_f64 v[22:23], v[36:37], -v[102:103]
	v_fma_f64 v[16:17], v[18:19], s[6:7], v[16:17]
	v_fma_f64 v[8:9], v[18:19], s[8:9], v[8:9]
	v_add_f64 v[22:23], v[22:23], v[24:25]
	v_fma_f64 v[184:185], v[20:21], s[2:3], v[16:17]
	v_fma_f64 v[72:73], v[20:21], s[2:3], v[8:9]
	v_add_f64 v[8:9], v[10:11], v[36:37]
	v_add_f64 v[16:17], v[34:35], -v[46:47]
	v_add_f64 v[20:21], v[38:39], -v[104:105]
	v_add_f64 v[8:9], v[8:9], v[102:103]
	v_add_f64 v[8:9], v[8:9], v[44:45]
	;; [unrolled: 1-line block ×4, first 2 shown]
	v_fma_f64 v[8:9], v[8:9], -0.5, v[10:11]
	v_fma_f64 v[18:19], v[16:17], s[4:5], v[8:9]
	v_fma_f64 v[8:9], v[16:17], s[14:15], v[8:9]
	;; [unrolled: 1-line block ×6, first 2 shown]
	v_add_f64 v[8:9], v[36:37], v[48:49]
	v_add_f64 v[18:19], v[102:103], -v[36:37]
	v_add_f64 v[22:23], v[44:45], -v[48:49]
	v_fma_f64 v[8:9], v[8:9], -0.5, v[10:11]
	v_add_f64 v[18:19], v[18:19], v[22:23]
	v_add_f64 v[22:23], v[117:118], -v[58:59]
	v_fma_f64 v[10:11], v[20:21], s[14:15], v[8:9]
	v_fma_f64 v[8:9], v[20:21], s[4:5], v[8:9]
	v_add_f64 v[20:21], v[106:107], -v[110:111]
	v_fma_f64 v[10:11], v[16:17], s[8:9], v[10:11]
	v_fma_f64 v[8:9], v[16:17], s[6:7], v[8:9]
	v_add_f64 v[20:21], v[20:21], v[22:23]
	v_fma_f64 v[186:187], v[18:19], s[2:3], v[10:11]
	v_fma_f64 v[74:75], v[18:19], s[2:3], v[8:9]
	v_add_f64 v[8:9], v[4:5], v[106:107]
	v_add_f64 v[10:11], v[108:109], -v[119:120]
	v_add_f64 v[18:19], v[112:113], -v[114:115]
	s_waitcnt vmcnt(0)
	ds_write_b128 v40, v[64:67]
	ds_write_b128 v40, v[68:71] offset:400
	ds_write_b128 v40, v[184:187] offset:800
	;; [unrolled: 1-line block ×4, first 2 shown]
	buffer_load_dword v40, off, s[24:27], 0 offset:1160 ; 4-byte Folded Reload
	v_add_f64 v[8:9], v[8:9], v[110:111]
	v_add_f64 v[8:9], v[8:9], v[58:59]
	v_add_f64 v[48:49], v[8:9], v[117:118]
	v_add_f64 v[8:9], v[110:111], v[58:59]
	v_fma_f64 v[8:9], v[8:9], -0.5, v[4:5]
	v_fma_f64 v[16:17], v[10:11], s[14:15], v[8:9]
	v_fma_f64 v[8:9], v[10:11], s[4:5], v[8:9]
	;; [unrolled: 1-line block ×6, first 2 shown]
	v_add_f64 v[8:9], v[106:107], v[117:118]
	v_add_f64 v[16:17], v[110:111], -v[106:107]
	v_add_f64 v[20:21], v[58:59], -v[117:118]
	v_fma_f64 v[4:5], v[8:9], -0.5, v[4:5]
	v_add_f64 v[16:17], v[16:17], v[20:21]
	v_add_f64 v[20:21], v[119:120], -v[114:115]
	v_fma_f64 v[8:9], v[18:19], s[4:5], v[4:5]
	v_fma_f64 v[4:5], v[18:19], s[14:15], v[4:5]
	v_add_f64 v[18:19], v[108:109], -v[112:113]
	v_fma_f64 v[8:9], v[10:11], s[6:7], v[8:9]
	v_fma_f64 v[4:5], v[10:11], s[8:9], v[4:5]
	v_add_f64 v[18:19], v[18:19], v[20:21]
	v_fma_f64 v[140:141], v[16:17], s[2:3], v[8:9]
	v_fma_f64 v[76:77], v[16:17], s[2:3], v[4:5]
	v_add_f64 v[4:5], v[6:7], v[108:109]
	v_add_f64 v[8:9], v[106:107], -v[117:118]
	v_add_f64 v[16:17], v[110:111], -v[58:59]
	v_add_f64 v[4:5], v[4:5], v[112:113]
	v_add_f64 v[4:5], v[4:5], v[114:115]
	;; [unrolled: 1-line block ×4, first 2 shown]
	v_fma_f64 v[4:5], v[4:5], -0.5, v[6:7]
	v_fma_f64 v[10:11], v[8:9], s[4:5], v[4:5]
	v_fma_f64 v[4:5], v[8:9], s[14:15], v[4:5]
	;; [unrolled: 1-line block ×6, first 2 shown]
	v_add_f64 v[4:5], v[108:109], v[119:120]
	v_add_f64 v[10:11], v[112:113], -v[108:109]
	v_add_f64 v[18:19], v[114:115], -v[119:120]
	v_fma_f64 v[4:5], v[4:5], -0.5, v[6:7]
	v_add_f64 v[10:11], v[10:11], v[18:19]
	v_add_f64 v[18:19], v[208:209], -v[129:130]
	v_fma_f64 v[6:7], v[16:17], s[14:15], v[4:5]
	v_fma_f64 v[4:5], v[16:17], s[4:5], v[4:5]
	v_add_f64 v[16:17], v[121:122], -v[125:126]
	v_fma_f64 v[6:7], v[8:9], s[8:9], v[6:7]
	v_fma_f64 v[4:5], v[8:9], s[6:7], v[4:5]
	v_add_f64 v[16:17], v[16:17], v[18:19]
	v_add_f64 v[18:19], v[90:91], -v[94:95]
	v_fma_f64 v[142:143], v[10:11], s[2:3], v[6:7]
	v_fma_f64 v[78:79], v[10:11], s[2:3], v[4:5]
	v_add_f64 v[4:5], v[0:1], v[121:122]
	v_add_f64 v[6:7], v[123:124], -v[80:81]
	v_add_f64 v[10:11], v[127:128], -v[131:132]
	s_waitcnt vmcnt(0)
	ds_write_b128 v40, v[48:51]
	ds_write_b128 v40, v[56:59] offset:400
	ds_write_b128 v40, v[140:143] offset:800
	;; [unrolled: 1-line block ×4, first 2 shown]
	buffer_load_dword v40, off, s[24:27], 0 offset:920 ; 4-byte Folded Reload
	v_add_f64 v[4:5], v[4:5], v[125:126]
	v_add_f64 v[4:5], v[4:5], v[129:130]
	;; [unrolled: 1-line block ×4, first 2 shown]
	v_fma_f64 v[4:5], v[4:5], -0.5, v[0:1]
	v_fma_f64 v[8:9], v[6:7], s[14:15], v[4:5]
	v_fma_f64 v[4:5], v[6:7], s[4:5], v[4:5]
	;; [unrolled: 1-line block ×6, first 2 shown]
	v_add_f64 v[4:5], v[121:122], v[208:209]
	v_add_f64 v[8:9], v[125:126], -v[121:122]
	v_add_f64 v[16:17], v[129:130], -v[208:209]
	v_fma_f64 v[0:1], v[4:5], -0.5, v[0:1]
	v_add_f64 v[8:9], v[8:9], v[16:17]
	v_add_f64 v[16:17], v[80:81], -v[131:132]
	v_fma_f64 v[4:5], v[10:11], s[4:5], v[0:1]
	v_fma_f64 v[0:1], v[10:11], s[14:15], v[0:1]
	v_add_f64 v[10:11], v[123:124], -v[127:128]
	v_fma_f64 v[4:5], v[6:7], s[6:7], v[4:5]
	v_fma_f64 v[0:1], v[6:7], s[8:9], v[0:1]
	v_add_f64 v[10:11], v[10:11], v[16:17]
	v_add_f64 v[16:17], v[94:95], -v[90:91]
	v_fma_f64 v[36:37], v[8:9], s[2:3], v[4:5]
	v_fma_f64 v[32:33], v[8:9], s[2:3], v[0:1]
	v_add_f64 v[0:1], v[2:3], v[123:124]
	v_add_f64 v[4:5], v[121:122], -v[208:209]
	v_add_f64 v[8:9], v[125:126], -v[129:130]
	v_add_f64 v[0:1], v[0:1], v[127:128]
	v_add_f64 v[0:1], v[0:1], v[131:132]
	;; [unrolled: 1-line block ×4, first 2 shown]
	v_fma_f64 v[0:1], v[0:1], -0.5, v[2:3]
	v_fma_f64 v[6:7], v[4:5], s[4:5], v[0:1]
	v_fma_f64 v[0:1], v[4:5], s[14:15], v[0:1]
	;; [unrolled: 1-line block ×6, first 2 shown]
	v_add_f64 v[0:1], v[123:124], v[80:81]
	v_add_f64 v[6:7], v[127:128], -v[123:124]
	v_add_f64 v[10:11], v[131:132], -v[80:81]
	;; [unrolled: 1-line block ×3, first 2 shown]
	v_fma_f64 v[0:1], v[0:1], -0.5, v[2:3]
	v_add_f64 v[6:7], v[6:7], v[10:11]
	v_add_f64 v[10:11], v[88:89], -v[92:93]
	v_fma_f64 v[2:3], v[8:9], s[14:15], v[0:1]
	v_fma_f64 v[0:1], v[8:9], s[4:5], v[0:1]
	v_add_f64 v[8:9], v[82:83], -v[86:87]
	v_fma_f64 v[2:3], v[4:5], s[8:9], v[2:3]
	v_fma_f64 v[0:1], v[4:5], s[6:7], v[0:1]
	v_add_f64 v[16:17], v[8:9], v[16:17]
	v_fma_f64 v[38:39], v[6:7], s[2:3], v[2:3]
	v_fma_f64 v[34:35], v[6:7], s[2:3], v[0:1]
	v_add_f64 v[0:1], v[12:13], v[82:83]
	v_add_f64 v[2:3], v[84:85], -v[96:97]
	s_waitcnt vmcnt(0)
	ds_write_b128 v40, v[24:27]
	ds_write_b128 v40, v[28:31] offset:400
	ds_write_b128 v40, v[36:39] offset:800
	;; [unrolled: 1-line block ×4, first 2 shown]
	buffer_load_dword v20, off, s[24:27], 0 offset:692 ; 4-byte Folded Reload
	v_add_f64 v[0:1], v[0:1], v[86:87]
	v_add_f64 v[0:1], v[0:1], v[90:91]
	;; [unrolled: 1-line block ×4, first 2 shown]
	v_fma_f64 v[0:1], v[0:1], -0.5, v[12:13]
	v_fma_f64 v[6:7], v[2:3], s[14:15], v[0:1]
	v_fma_f64 v[0:1], v[2:3], s[4:5], v[0:1]
	;; [unrolled: 1-line block ×5, first 2 shown]
	v_add_f64 v[6:7], v[82:83], v[94:95]
	v_fma_f64 v[0:1], v[16:17], s[2:3], v[0:1]
	v_add_f64 v[16:17], v[86:87], -v[82:83]
	v_add_f64 v[82:83], v[86:87], -v[90:91]
	;; [unrolled: 1-line block ×3, first 2 shown]
	v_fma_f64 v[6:7], v[6:7], -0.5, v[12:13]
	v_add_f64 v[18:19], v[16:17], v[18:19]
	v_fma_f64 v[12:13], v[10:11], s[4:5], v[6:7]
	v_fma_f64 v[6:7], v[10:11], s[14:15], v[6:7]
	;; [unrolled: 1-line block ×6, first 2 shown]
	v_add_f64 v[2:3], v[14:15], v[84:85]
	v_add_f64 v[18:19], v[84:85], -v[88:89]
	v_add_f64 v[2:3], v[2:3], v[88:89]
	v_add_f64 v[18:19], v[18:19], v[86:87]
	v_add_f64 v[86:87], v[92:93], -v[96:97]
	v_add_f64 v[2:3], v[2:3], v[92:93]
	v_add_f64 v[6:7], v[2:3], v[96:97]
	;; [unrolled: 1-line block ×3, first 2 shown]
	v_fma_f64 v[2:3], v[2:3], -0.5, v[14:15]
	v_fma_f64 v[10:11], v[80:81], s[4:5], v[2:3]
	v_fma_f64 v[2:3], v[80:81], s[14:15], v[2:3]
	;; [unrolled: 1-line block ×6, first 2 shown]
	v_add_f64 v[18:19], v[84:85], v[96:97]
	v_add_f64 v[84:85], v[88:89], -v[84:85]
	v_fma_f64 v[14:15], v[18:19], -0.5, v[14:15]
	v_add_f64 v[84:85], v[84:85], v[86:87]
	v_fma_f64 v[18:19], v[82:83], s[14:15], v[14:15]
	v_fma_f64 v[14:15], v[82:83], s[4:5], v[14:15]
	;; [unrolled: 1-line block ×6, first 2 shown]
	s_waitcnt vmcnt(0)
	ds_write_b128 v20, v[4:7]
	ds_write_b128 v20, v[8:11] offset:400
	ds_write_b128 v20, v[16:19] offset:800
	;; [unrolled: 1-line block ×4, first 2 shown]
	s_waitcnt lgkmcnt(0)
	s_barrier
	ds_read_b128 v[20:23], v116
	ds_read_b128 v[8:11], v116 offset:10000
	ds_read_b128 v[12:15], v116 offset:20000
	;; [unrolled: 1-line block ×24, first 2 shown]
	s_waitcnt lgkmcnt(14)
	v_mul_f64 v[44:45], v[202:203], v[10:11]
	v_fma_f64 v[44:45], v[200:201], v[8:9], v[44:45]
	v_mul_f64 v[8:9], v[202:203], v[8:9]
	v_fma_f64 v[78:79], v[200:201], v[10:11], -v[8:9]
	v_mul_f64 v[8:9], v[190:191], v[14:15]
	v_fma_f64 v[114:115], v[188:189], v[12:13], v[8:9]
	v_mul_f64 v[8:9], v[190:191], v[12:13]
	buffer_load_dword v10, off, s[24:27], 0 offset:760 ; 4-byte Folded Reload
	buffer_load_dword v11, off, s[24:27], 0 offset:764 ; 4-byte Folded Reload
	;; [unrolled: 1-line block ×4, first 2 shown]
	v_fma_f64 v[129:130], v[188:189], v[14:15], -v[8:9]
	v_mul_f64 v[8:9], v[178:179], v[18:19]
	v_fma_f64 v[14:15], v[176:177], v[16:17], v[8:9]
	v_mul_f64 v[8:9], v[178:179], v[16:17]
	v_add_f64 v[16:17], v[44:45], -v[114:115]
	v_fma_f64 v[131:132], v[176:177], v[18:19], -v[8:9]
	v_mul_f64 v[8:9], v[162:163], v[30:31]
	v_fma_f64 v[18:19], v[160:161], v[28:29], v[8:9]
	v_mul_f64 v[8:9], v[162:163], v[28:29]
	v_fma_f64 v[28:29], v[160:161], v[30:31], -v[8:9]
	v_mul_f64 v[8:9], v[202:203], v[34:35]
	v_add_f64 v[30:31], v[78:79], -v[28:29]
	v_fma_f64 v[138:139], v[200:201], v[32:33], v[8:9]
	v_mul_f64 v[8:9], v[202:203], v[32:33]
	v_add_f64 v[32:33], v[129:130], -v[131:132]
	v_fma_f64 v[46:47], v[200:201], v[34:35], -v[8:9]
	v_mul_f64 v[8:9], v[190:191], v[38:39]
	v_fma_f64 v[34:35], v[188:189], v[36:37], v[8:9]
	v_mul_f64 v[8:9], v[190:191], v[36:37]
	v_add_f64 v[36:37], v[18:19], -v[14:15]
	v_fma_f64 v[48:49], v[188:189], v[38:39], -v[8:9]
	v_mul_f64 v[8:9], v[178:179], v[52:53]
	v_add_f64 v[36:37], v[16:17], v[36:37]
	v_fma_f64 v[38:39], v[176:177], v[50:51], v[8:9]
	v_mul_f64 v[8:9], v[178:179], v[50:51]
	v_fma_f64 v[50:51], v[176:177], v[52:53], -v[8:9]
	v_mul_f64 v[8:9], v[162:163], v[56:57]
	v_fma_f64 v[52:53], v[160:161], v[54:55], v[8:9]
	v_mul_f64 v[8:9], v[162:163], v[54:55]
	v_fma_f64 v[56:57], v[160:161], v[56:57], -v[8:9]
	s_waitcnt vmcnt(0) lgkmcnt(13)
	v_mul_f64 v[8:9], v[12:13], v[60:61]
	v_fma_f64 v[54:55], v[10:11], v[58:59], v[8:9]
	v_mul_f64 v[8:9], v[12:13], v[58:59]
	v_fma_f64 v[62:63], v[10:11], v[60:61], -v[8:9]
	buffer_load_dword v10, off, s[24:27], 0 offset:776 ; 4-byte Folded Reload
	buffer_load_dword v11, off, s[24:27], 0 offset:780 ; 4-byte Folded Reload
	;; [unrolled: 1-line block ×4, first 2 shown]
	v_add_f64 v[60:61], v[14:15], -v[18:19]
	s_waitcnt vmcnt(0) lgkmcnt(12)
	v_mul_f64 v[8:9], v[12:13], v[66:67]
	v_fma_f64 v[58:59], v[10:11], v[64:65], v[8:9]
	v_mul_f64 v[8:9], v[12:13], v[64:65]
	v_fma_f64 v[64:65], v[10:11], v[66:67], -v[8:9]
	buffer_load_dword v10, off, s[24:27], 0 offset:792 ; 4-byte Folded Reload
	buffer_load_dword v11, off, s[24:27], 0 offset:796 ; 4-byte Folded Reload
	buffer_load_dword v12, off, s[24:27], 0 offset:800 ; 4-byte Folded Reload
	buffer_load_dword v13, off, s[24:27], 0 offset:804 ; 4-byte Folded Reload
	s_waitcnt vmcnt(0) lgkmcnt(11)
	v_mul_f64 v[8:9], v[12:13], v[70:71]
	v_fma_f64 v[72:73], v[10:11], v[68:69], v[8:9]
	v_mul_f64 v[8:9], v[12:13], v[68:69]
	v_fma_f64 v[66:67], v[10:11], v[70:71], -v[8:9]
	buffer_load_dword v10, off, s[24:27], 0 offset:808 ; 4-byte Folded Reload
	buffer_load_dword v11, off, s[24:27], 0 offset:812 ; 4-byte Folded Reload
	buffer_load_dword v12, off, s[24:27], 0 offset:816 ; 4-byte Folded Reload
	buffer_load_dword v13, off, s[24:27], 0 offset:820 ; 4-byte Folded Reload
	;; [unrolled: 9-line block ×7, first 2 shown]
	s_waitcnt vmcnt(0) lgkmcnt(3)
	v_mul_f64 v[8:9], v[12:13], v[112:113]
	v_fma_f64 v[92:93], v[10:11], v[110:111], v[8:9]
	v_mul_f64 v[8:9], v[12:13], v[110:111]
	v_add_f64 v[110:111], v[48:49], -v[50:51]
	v_fma_f64 v[84:85], v[10:11], v[112:113], -v[8:9]
	buffer_load_dword v10, off, s[24:27], 0 offset:1100 ; 4-byte Folded Reload
	buffer_load_dword v11, off, s[24:27], 0 offset:1104 ; 4-byte Folded Reload
	;; [unrolled: 1-line block ×4, first 2 shown]
	v_add_f64 v[112:113], v[38:39], -v[52:53]
	s_waitcnt vmcnt(0) lgkmcnt(2)
	v_mul_f64 v[8:9], v[12:13], v[119:120]
	v_fma_f64 v[94:95], v[10:11], v[117:118], v[8:9]
	v_mul_f64 v[8:9], v[12:13], v[117:118]
	v_fma_f64 v[86:87], v[10:11], v[119:120], -v[8:9]
	buffer_load_dword v10, off, s[24:27], 0 offset:1116 ; 4-byte Folded Reload
	buffer_load_dword v11, off, s[24:27], 0 offset:1120 ; 4-byte Folded Reload
	;; [unrolled: 1-line block ×4, first 2 shown]
	s_waitcnt vmcnt(0) lgkmcnt(1)
	v_mul_f64 v[8:9], v[12:13], v[123:124]
	v_fma_f64 v[96:97], v[10:11], v[121:122], v[8:9]
	v_mul_f64 v[8:9], v[12:13], v[121:122]
	v_fma_f64 v[88:89], v[10:11], v[123:124], -v[8:9]
	buffer_load_dword v10, off, s[24:27], 0 offset:1132 ; 4-byte Folded Reload
	buffer_load_dword v11, off, s[24:27], 0 offset:1136 ; 4-byte Folded Reload
	;; [unrolled: 1-line block ×4, first 2 shown]
	s_waitcnt vmcnt(0) lgkmcnt(0)
	s_barrier
	v_mul_f64 v[8:9], v[12:13], v[127:128]
	v_fma_f64 v[98:99], v[10:11], v[125:126], v[8:9]
	v_mul_f64 v[8:9], v[12:13], v[125:126]
	v_fma_f64 v[90:91], v[10:11], v[127:128], -v[8:9]
	v_add_f64 v[10:11], v[114:115], v[14:15]
	v_add_f64 v[8:9], v[20:21], v[44:45]
	v_fma_f64 v[10:11], v[10:11], -0.5, v[20:21]
	v_add_f64 v[8:9], v[8:9], v[114:115]
	v_fma_f64 v[12:13], v[30:31], s[14:15], v[10:11]
	v_fma_f64 v[10:11], v[30:31], s[4:5], v[10:11]
	v_add_f64 v[8:9], v[8:9], v[14:15]
	v_fma_f64 v[12:13], v[32:33], s[6:7], v[12:13]
	v_fma_f64 v[10:11], v[32:33], s[8:9], v[10:11]
	;; [unrolled: 3-line block ×3, first 2 shown]
	v_add_f64 v[10:11], v[44:45], v[18:19]
	v_add_f64 v[36:37], v[114:115], -v[44:45]
	v_fma_f64 v[10:11], v[10:11], -0.5, v[20:21]
	v_add_f64 v[36:37], v[36:37], v[60:61]
	v_add_f64 v[60:61], v[46:47], -v[56:57]
	v_fma_f64 v[20:21], v[32:33], s[4:5], v[10:11]
	v_fma_f64 v[10:11], v[32:33], s[14:15], v[10:11]
	v_add_f64 v[32:33], v[44:45], -v[18:19]
	v_add_f64 v[44:45], v[28:29], -v[131:132]
	v_fma_f64 v[20:21], v[30:31], s[6:7], v[20:21]
	v_fma_f64 v[10:11], v[30:31], s[8:9], v[10:11]
	v_add_f64 v[30:31], v[129:130], v[131:132]
	v_fma_f64 v[76:77], v[36:37], s[2:3], v[20:21]
	v_fma_f64 v[20:21], v[36:37], s[2:3], v[10:11]
	v_fma_f64 v[30:31], v[30:31], -0.5, v[22:23]
	v_add_f64 v[36:37], v[114:115], -v[14:15]
	v_add_f64 v[10:11], v[22:23], v[78:79]
	v_add_f64 v[114:115], v[72:73], -v[80:81]
	v_fma_f64 v[18:19], v[32:33], s[4:5], v[30:31]
	v_add_f64 v[10:11], v[10:11], v[129:130]
	v_fma_f64 v[14:15], v[36:37], s[8:9], v[18:19]
	v_add_f64 v[18:19], v[78:79], -v[129:130]
	v_add_f64 v[10:11], v[10:11], v[131:132]
	v_add_f64 v[44:45], v[18:19], v[44:45]
	v_add_f64 v[10:11], v[10:11], v[28:29]
	v_fma_f64 v[18:19], v[44:45], s[2:3], v[14:15]
	v_fma_f64 v[14:15], v[32:33], s[14:15], v[30:31]
	v_add_f64 v[30:31], v[78:79], v[28:29]
	v_add_f64 v[28:29], v[131:132], -v[28:29]
	v_fma_f64 v[14:15], v[36:37], s[6:7], v[14:15]
	v_fma_f64 v[22:23], v[30:31], -0.5, v[22:23]
	v_fma_f64 v[14:15], v[44:45], s[2:3], v[14:15]
	v_fma_f64 v[30:31], v[36:37], s[14:15], v[22:23]
	v_add_f64 v[44:45], v[129:130], -v[78:79]
	v_fma_f64 v[22:23], v[36:37], s[4:5], v[22:23]
	v_add_f64 v[36:37], v[138:139], -v[34:35]
	v_fma_f64 v[30:31], v[32:33], s[8:9], v[30:31]
	v_add_f64 v[28:29], v[44:45], v[28:29]
	v_fma_f64 v[22:23], v[32:33], s[6:7], v[22:23]
	v_add_f64 v[44:45], v[52:53], -v[38:39]
	v_fma_f64 v[78:79], v[28:29], s[2:3], v[30:31]
	v_add_f64 v[30:31], v[34:35], v[38:39]
	v_add_f64 v[44:45], v[36:37], v[44:45]
	v_fma_f64 v[22:23], v[28:29], s[2:3], v[22:23]
	v_add_f64 v[28:29], v[40:41], v[138:139]
	v_fma_f64 v[30:31], v[30:31], -0.5, v[40:41]
	v_add_f64 v[28:29], v[28:29], v[34:35]
	v_fma_f64 v[32:33], v[60:61], s[14:15], v[30:31]
	v_fma_f64 v[30:31], v[60:61], s[4:5], v[30:31]
	v_add_f64 v[28:29], v[28:29], v[38:39]
	v_fma_f64 v[32:33], v[110:111], s[6:7], v[32:33]
	v_fma_f64 v[30:31], v[110:111], s[8:9], v[30:31]
	;; [unrolled: 3-line block ×3, first 2 shown]
	v_add_f64 v[30:31], v[138:139], v[52:53]
	v_add_f64 v[44:45], v[34:35], -v[138:139]
	v_add_f64 v[52:53], v[138:139], -v[52:53]
	v_fma_f64 v[30:31], v[30:31], -0.5, v[40:41]
	v_add_f64 v[112:113], v[44:45], v[112:113]
	v_fma_f64 v[40:41], v[110:111], s[4:5], v[30:31]
	v_fma_f64 v[30:31], v[110:111], s[14:15], v[30:31]
	;; [unrolled: 1-line block ×4, first 2 shown]
	v_add_f64 v[60:61], v[48:49], v[50:51]
	v_fma_f64 v[44:45], v[112:113], s[2:3], v[40:41]
	v_fma_f64 v[40:41], v[112:113], s[2:3], v[30:31]
	v_fma_f64 v[60:61], v[60:61], -0.5, v[42:43]
	v_add_f64 v[112:113], v[34:35], -v[38:39]
	v_add_f64 v[38:39], v[46:47], -v[48:49]
	v_add_f64 v[30:31], v[42:43], v[46:47]
	v_fma_f64 v[110:111], v[52:53], s[4:5], v[60:61]
	v_add_f64 v[30:31], v[30:31], v[48:49]
	v_fma_f64 v[34:35], v[112:113], s[8:9], v[110:111]
	v_add_f64 v[110:111], v[56:57], -v[50:51]
	v_add_f64 v[30:31], v[30:31], v[50:51]
	v_add_f64 v[110:111], v[38:39], v[110:111]
	;; [unrolled: 1-line block ×3, first 2 shown]
	v_fma_f64 v[38:39], v[110:111], s[2:3], v[34:35]
	v_fma_f64 v[34:35], v[52:53], s[14:15], v[60:61]
	v_add_f64 v[60:61], v[46:47], v[56:57]
	v_add_f64 v[46:47], v[48:49], -v[46:47]
	v_add_f64 v[48:49], v[50:51], -v[56:57]
	v_add_f64 v[50:51], v[58:59], v[72:73]
	v_add_f64 v[56:57], v[54:55], -v[58:59]
	v_fma_f64 v[34:35], v[112:113], s[6:7], v[34:35]
	v_fma_f64 v[42:43], v[60:61], -0.5, v[42:43]
	v_add_f64 v[48:49], v[46:47], v[48:49]
	v_fma_f64 v[50:51], v[50:51], -0.5, v[24:25]
	v_fma_f64 v[34:35], v[110:111], s[2:3], v[34:35]
	v_fma_f64 v[60:61], v[112:113], s[14:15], v[42:43]
	;; [unrolled: 1-line block ×3, first 2 shown]
	v_add_f64 v[110:111], v[62:63], -v[68:69]
	v_add_f64 v[112:113], v[64:65], -v[66:67]
	v_fma_f64 v[60:61], v[52:53], s[8:9], v[60:61]
	v_fma_f64 v[42:43], v[52:53], s[6:7], v[42:43]
	;; [unrolled: 1-line block ×5, first 2 shown]
	v_add_f64 v[60:61], v[80:81], -v[72:73]
	v_fma_f64 v[52:53], v[112:113], s[6:7], v[52:53]
	v_fma_f64 v[50:51], v[112:113], s[8:9], v[50:51]
	;; [unrolled: 1-line block ×3, first 2 shown]
	v_add_f64 v[48:49], v[24:25], v[54:55]
	ds_write_b128 v116, v[8:11]
	ds_write_b128 v116, v[16:19] offset:2000
	ds_write_b128 v116, v[76:79] offset:4000
	;; [unrolled: 1-line block ×9, first 2 shown]
	buffer_load_dword v8, off, s[24:27], 0 offset:1148 ; 4-byte Folded Reload
	v_add_f64 v[60:61], v[56:57], v[60:61]
	v_add_f64 v[48:49], v[48:49], v[58:59]
	v_fma_f64 v[56:57], v[60:61], s[2:3], v[52:53]
	v_fma_f64 v[52:53], v[60:61], s[2:3], v[50:51]
	v_add_f64 v[50:51], v[54:55], v[80:81]
	v_add_f64 v[60:61], v[58:59], -v[54:55]
	v_add_f64 v[48:49], v[48:49], v[72:73]
	v_add_f64 v[72:73], v[58:59], -v[72:73]
	v_add_f64 v[58:59], v[62:63], -v[64:65]
	v_fma_f64 v[24:25], v[50:51], -0.5, v[24:25]
	v_add_f64 v[114:115], v[60:61], v[114:115]
	v_add_f64 v[48:49], v[48:49], v[80:81]
	v_add_f64 v[80:81], v[54:55], -v[80:81]
	v_fma_f64 v[50:51], v[112:113], s[4:5], v[24:25]
	v_fma_f64 v[24:25], v[112:113], s[14:15], v[24:25]
	v_add_f64 v[112:113], v[68:69], -v[66:67]
	v_fma_f64 v[50:51], v[110:111], s[6:7], v[50:51]
	v_fma_f64 v[24:25], v[110:111], s[8:9], v[24:25]
	v_add_f64 v[110:111], v[64:65], v[66:67]
	v_add_f64 v[112:113], v[58:59], v[112:113]
	v_fma_f64 v[60:61], v[114:115], s[2:3], v[50:51]
	v_add_f64 v[50:51], v[26:27], v[62:63]
	v_fma_f64 v[110:111], v[110:111], -0.5, v[26:27]
	v_fma_f64 v[24:25], v[114:115], s[2:3], v[24:25]
	v_add_f64 v[114:115], v[106:107], -v[108:109]
	v_add_f64 v[50:51], v[50:51], v[64:65]
	v_fma_f64 v[54:55], v[80:81], s[4:5], v[110:111]
	v_add_f64 v[50:51], v[50:51], v[66:67]
	v_fma_f64 v[54:55], v[72:73], s[8:9], v[54:55]
	;; [unrolled: 2-line block ×3, first 2 shown]
	v_fma_f64 v[54:55], v[80:81], s[14:15], v[110:111]
	v_add_f64 v[110:111], v[62:63], v[68:69]
	v_add_f64 v[62:63], v[64:65], -v[62:63]
	v_add_f64 v[64:65], v[66:67], -v[68:69]
	v_add_f64 v[66:67], v[74:75], v[106:107]
	v_fma_f64 v[54:55], v[72:73], s[6:7], v[54:55]
	v_fma_f64 v[26:27], v[110:111], -0.5, v[26:27]
	v_add_f64 v[64:65], v[62:63], v[64:65]
	v_fma_f64 v[66:67], v[66:67], -0.5, v[4:5]
	v_fma_f64 v[54:55], v[112:113], s[2:3], v[54:55]
	v_fma_f64 v[110:111], v[72:73], s[14:15], v[26:27]
	;; [unrolled: 1-line block ×3, first 2 shown]
	v_add_f64 v[112:113], v[100:101], -v[102:103]
	v_add_f64 v[72:73], v[70:71], -v[74:75]
	v_fma_f64 v[110:111], v[80:81], s[8:9], v[110:111]
	v_fma_f64 v[26:27], v[80:81], s[6:7], v[26:27]
	v_add_f64 v[80:81], v[108:109], -v[106:107]
	v_fma_f64 v[62:63], v[64:65], s[2:3], v[110:111]
	v_add_f64 v[110:111], v[82:83], -v[104:105]
	v_add_f64 v[80:81], v[72:73], v[80:81]
	v_fma_f64 v[26:27], v[64:65], s[2:3], v[26:27]
	v_add_f64 v[64:65], v[4:5], v[70:71]
	s_waitcnt vmcnt(0)
	ds_write_b128 v8, v[48:51] offset:20000
	ds_write_b128 v8, v[56:59] offset:22000
	;; [unrolled: 1-line block ×5, first 2 shown]
	v_fma_f64 v[68:69], v[110:111], s[14:15], v[66:67]
	v_fma_f64 v[66:67], v[110:111], s[4:5], v[66:67]
	buffer_load_dword v8, off, s[24:27], 0 offset:1152 ; 4-byte Folded Reload
	v_add_f64 v[64:65], v[64:65], v[74:75]
	v_fma_f64 v[68:69], v[112:113], s[6:7], v[68:69]
	v_fma_f64 v[66:67], v[112:113], s[8:9], v[66:67]
	v_add_f64 v[64:65], v[64:65], v[106:107]
	v_add_f64 v[106:107], v[74:75], -v[106:107]
	v_fma_f64 v[72:73], v[80:81], s[2:3], v[68:69]
	v_fma_f64 v[68:69], v[80:81], s[2:3], v[66:67]
	v_add_f64 v[66:67], v[70:71], v[108:109]
	v_add_f64 v[64:65], v[64:65], v[108:109]
	v_add_f64 v[108:109], v[70:71], -v[108:109]
	v_add_f64 v[80:81], v[74:75], -v[70:71]
	;; [unrolled: 1-line block ×3, first 2 shown]
	v_fma_f64 v[4:5], v[66:67], -0.5, v[4:5]
	v_add_f64 v[114:115], v[80:81], v[114:115]
	v_fma_f64 v[66:67], v[112:113], s[4:5], v[4:5]
	v_fma_f64 v[4:5], v[112:113], s[14:15], v[4:5]
	v_add_f64 v[112:113], v[104:105], -v[102:103]
	v_fma_f64 v[66:67], v[110:111], s[6:7], v[66:67]
	v_fma_f64 v[4:5], v[110:111], s[8:9], v[4:5]
	v_add_f64 v[110:111], v[100:101], v[102:103]
	v_add_f64 v[112:113], v[74:75], v[112:113]
	v_fma_f64 v[80:81], v[114:115], s[2:3], v[66:67]
	v_add_f64 v[66:67], v[6:7], v[82:83]
	v_fma_f64 v[110:111], v[110:111], -0.5, v[6:7]
	v_fma_f64 v[4:5], v[114:115], s[2:3], v[4:5]
	v_add_f64 v[114:115], v[96:97], -v[98:99]
	v_add_f64 v[66:67], v[66:67], v[100:101]
	v_fma_f64 v[70:71], v[108:109], s[4:5], v[110:111]
	v_add_f64 v[66:67], v[66:67], v[102:103]
	v_fma_f64 v[70:71], v[106:107], s[8:9], v[70:71]
	;; [unrolled: 2-line block ×3, first 2 shown]
	v_fma_f64 v[70:71], v[108:109], s[14:15], v[110:111]
	v_add_f64 v[110:111], v[82:83], v[104:105]
	v_add_f64 v[82:83], v[100:101], -v[82:83]
	v_add_f64 v[100:101], v[102:103], -v[104:105]
	v_add_f64 v[102:103], v[94:95], v[96:97]
	v_fma_f64 v[70:71], v[106:107], s[6:7], v[70:71]
	v_fma_f64 v[6:7], v[110:111], -0.5, v[6:7]
	v_add_f64 v[100:101], v[82:83], v[100:101]
	v_fma_f64 v[102:103], v[102:103], -0.5, v[0:1]
	v_fma_f64 v[70:71], v[112:113], s[2:3], v[70:71]
	v_fma_f64 v[110:111], v[106:107], s[14:15], v[6:7]
	;; [unrolled: 1-line block ×3, first 2 shown]
	v_add_f64 v[106:107], v[84:85], -v[90:91]
	v_add_f64 v[112:113], v[98:99], -v[96:97]
	v_fma_f64 v[110:111], v[108:109], s[8:9], v[110:111]
	v_fma_f64 v[6:7], v[108:109], s[6:7], v[6:7]
	v_fma_f64 v[104:105], v[106:107], s[14:15], v[102:103]
	v_add_f64 v[108:109], v[92:93], -v[94:95]
	v_fma_f64 v[102:103], v[106:107], s[4:5], v[102:103]
	v_fma_f64 v[82:83], v[100:101], s[2:3], v[110:111]
	v_add_f64 v[110:111], v[86:87], -v[88:89]
	v_fma_f64 v[6:7], v[100:101], s[2:3], v[6:7]
	v_add_f64 v[108:109], v[108:109], v[112:113]
	v_add_f64 v[100:101], v[0:1], v[92:93]
	v_add_f64 v[112:113], v[94:95], -v[92:93]
	s_waitcnt vmcnt(0)
	ds_write_b128 v8, v[64:67] offset:30000
	ds_write_b128 v8, v[72:75] offset:32000
	;; [unrolled: 1-line block ×5, first 2 shown]
	buffer_load_dword v4, off, s[24:27], 0 offset:1156 ; 4-byte Folded Reload
	v_fma_f64 v[104:105], v[110:111], s[6:7], v[104:105]
	v_fma_f64 v[102:103], v[110:111], s[8:9], v[102:103]
	v_add_f64 v[100:101], v[100:101], v[94:95]
	v_add_f64 v[94:95], v[94:95], -v[96:97]
	v_add_f64 v[112:113], v[112:113], v[114:115]
	v_fma_f64 v[104:105], v[108:109], s[2:3], v[104:105]
	v_fma_f64 v[108:109], v[108:109], s[2:3], v[102:103]
	v_add_f64 v[102:103], v[92:93], v[98:99]
	v_add_f64 v[100:101], v[100:101], v[96:97]
	v_add_f64 v[92:93], v[92:93], -v[98:99]
	v_fma_f64 v[102:103], v[102:103], -0.5, v[0:1]
	v_add_f64 v[100:101], v[100:101], v[98:99]
	v_fma_f64 v[0:1], v[110:111], s[4:5], v[102:103]
	v_fma_f64 v[102:103], v[110:111], s[14:15], v[102:103]
	;; [unrolled: 1-line block ×4, first 2 shown]
	v_add_f64 v[106:107], v[86:87], v[88:89]
	v_fma_f64 v[0:1], v[112:113], s[2:3], v[0:1]
	v_fma_f64 v[112:113], v[112:113], s[2:3], v[102:103]
	v_fma_f64 v[110:111], v[106:107], -0.5, v[2:3]
	v_add_f64 v[106:107], v[90:91], -v[88:89]
	v_add_f64 v[102:103], v[2:3], v[84:85]
	v_fma_f64 v[98:99], v[92:93], s[4:5], v[110:111]
	v_add_f64 v[102:103], v[102:103], v[86:87]
	v_fma_f64 v[96:97], v[94:95], s[8:9], v[98:99]
	v_add_f64 v[98:99], v[84:85], -v[86:87]
	v_add_f64 v[102:103], v[102:103], v[88:89]
	v_add_f64 v[98:99], v[98:99], v[106:107]
	;; [unrolled: 1-line block ×3, first 2 shown]
	v_fma_f64 v[106:107], v[98:99], s[2:3], v[96:97]
	v_fma_f64 v[96:97], v[92:93], s[14:15], v[110:111]
	;; [unrolled: 1-line block ×4, first 2 shown]
	v_add_f64 v[96:97], v[84:85], v[90:91]
	v_add_f64 v[84:85], v[86:87], -v[84:85]
	v_add_f64 v[86:87], v[88:89], -v[90:91]
	v_fma_f64 v[96:97], v[96:97], -0.5, v[2:3]
	v_add_f64 v[84:85], v[84:85], v[86:87]
	v_fma_f64 v[2:3], v[94:95], s[14:15], v[96:97]
	v_fma_f64 v[86:87], v[94:95], s[4:5], v[96:97]
	;; [unrolled: 1-line block ×6, first 2 shown]
	s_waitcnt vmcnt(0)
	ds_write_b128 v4, v[100:103] offset:40000
	ds_write_b128 v4, v[104:107] offset:42000
	;; [unrolled: 1-line block ×5, first 2 shown]
	s_waitcnt lgkmcnt(0)
	s_barrier
	ds_read_b128 v[20:23], v116
	ds_read_b128 v[8:11], v116 offset:10000
	ds_read_b128 v[12:15], v116 offset:20000
	;; [unrolled: 1-line block ×24, first 2 shown]
	s_waitcnt lgkmcnt(14)
	v_mul_f64 v[32:33], v[242:243], v[10:11]
	v_fma_f64 v[32:33], v[240:241], v[8:9], v[32:33]
	v_mul_f64 v[8:9], v[242:243], v[8:9]
	v_fma_f64 v[36:37], v[240:241], v[10:11], -v[8:9]
	v_mul_f64 v[8:9], v[250:251], v[14:15]
	v_fma_f64 v[44:45], v[248:249], v[12:13], v[8:9]
	v_mul_f64 v[8:9], v[250:251], v[12:13]
	buffer_load_dword v10, off, s[24:27], 0 offset:1196 ; 4-byte Folded Reload
	buffer_load_dword v11, off, s[24:27], 0 offset:1200 ; 4-byte Folded Reload
	;; [unrolled: 1-line block ×4, first 2 shown]
	v_fma_f64 v[129:130], v[248:249], v[14:15], -v[8:9]
	s_waitcnt vmcnt(0)
	v_mul_f64 v[8:9], v[12:13], v[18:19]
	v_fma_f64 v[14:15], v[10:11], v[16:17], v[8:9]
	v_mul_f64 v[8:9], v[12:13], v[16:17]
	v_add_f64 v[16:17], v[32:33], -v[44:45]
	v_fma_f64 v[131:132], v[10:11], v[18:19], -v[8:9]
	buffer_load_dword v10, off, s[24:27], 0 offset:1180 ; 4-byte Folded Reload
	buffer_load_dword v11, off, s[24:27], 0 offset:1184 ; 4-byte Folded Reload
	;; [unrolled: 1-line block ×4, first 2 shown]
	s_waitcnt vmcnt(0)
	v_mul_f64 v[8:9], v[12:13], v[26:27]
	v_fma_f64 v[18:19], v[10:11], v[24:25], v[8:9]
	v_mul_f64 v[8:9], v[12:13], v[24:25]
	v_add_f64 v[24:25], v[18:19], -v[14:15]
	v_fma_f64 v[26:27], v[10:11], v[26:27], -v[8:9]
	v_mul_f64 v[8:9], v[226:227], v[30:31]
	v_add_f64 v[10:11], v[44:45], v[14:15]
	v_add_f64 v[24:25], v[16:17], v[24:25]
	v_fma_f64 v[34:35], v[224:225], v[28:29], v[8:9]
	v_mul_f64 v[8:9], v[226:227], v[28:29]
	v_fma_f64 v[10:11], v[10:11], -0.5, v[20:21]
	v_add_f64 v[28:29], v[36:37], -v[26:27]
	v_fma_f64 v[46:47], v[224:225], v[30:31], -v[8:9]
	v_mul_f64 v[8:9], v[234:235], v[50:51]
	v_fma_f64 v[12:13], v[28:29], s[14:15], v[10:11]
	v_add_f64 v[30:31], v[129:130], -v[131:132]
	v_fma_f64 v[10:11], v[28:29], s[4:5], v[10:11]
	v_fma_f64 v[38:39], v[232:233], v[48:49], v[8:9]
	v_mul_f64 v[8:9], v[234:235], v[48:49]
	v_fma_f64 v[12:13], v[30:31], s[6:7], v[12:13]
	v_fma_f64 v[10:11], v[30:31], s[8:9], v[10:11]
	v_fma_f64 v[48:49], v[232:233], v[50:51], -v[8:9]
	v_mul_f64 v[8:9], v[238:239], v[54:55]
	v_fma_f64 v[16:17], v[24:25], s[2:3], v[12:13]
	v_fma_f64 v[12:13], v[24:25], s[2:3], v[10:11]
	v_add_f64 v[10:11], v[32:33], v[18:19]
	v_add_f64 v[24:25], v[44:45], -v[32:33]
	v_fma_f64 v[56:57], v[236:237], v[52:53], v[8:9]
	v_mul_f64 v[8:9], v[238:239], v[52:53]
	v_fma_f64 v[10:11], v[10:11], -0.5, v[20:21]
	v_fma_f64 v[50:51], v[236:237], v[54:55], -v[8:9]
	v_mul_f64 v[8:9], v[246:247], v[64:65]
	v_fma_f64 v[60:61], v[244:245], v[62:63], v[8:9]
	v_mul_f64 v[8:9], v[246:247], v[62:63]
	v_fma_f64 v[52:53], v[244:245], v[64:65], -v[8:9]
	s_waitcnt lgkmcnt(13)
	v_mul_f64 v[8:9], v[198:199], v[68:69]
	v_add_f64 v[64:65], v[14:15], -v[18:19]
	v_fma_f64 v[54:55], v[196:197], v[66:67], v[8:9]
	v_mul_f64 v[8:9], v[198:199], v[66:67]
	v_add_f64 v[64:65], v[24:25], v[64:65]
	v_fma_f64 v[62:63], v[196:197], v[68:69], -v[8:9]
	s_waitcnt lgkmcnt(12)
	v_mul_f64 v[8:9], v[214:215], v[72:73]
	v_fma_f64 v[58:59], v[212:213], v[70:71], v[8:9]
	v_mul_f64 v[8:9], v[214:215], v[70:71]
	v_fma_f64 v[66:67], v[212:213], v[72:73], -v[8:9]
	s_waitcnt lgkmcnt(11)
	v_mul_f64 v[8:9], v[218:219], v[82:83]
	v_fma_f64 v[72:73], v[216:217], v[80:81], v[8:9]
	v_mul_f64 v[8:9], v[218:219], v[80:81]
	;; [unrolled: 5-line block ×7, first 2 shown]
	v_add_f64 v[112:113], v[48:49], -v[50:51]
	v_fma_f64 v[104:105], v[204:205], v[114:115], -v[8:9]
	s_waitcnt lgkmcnt(3)
	v_mul_f64 v[8:9], v[136:137], v[119:120]
	v_add_f64 v[114:115], v[56:57], -v[60:61]
	v_fma_f64 v[92:93], v[134:135], v[117:118], v[8:9]
	v_mul_f64 v[8:9], v[136:137], v[117:118]
	v_fma_f64 v[84:85], v[134:135], v[119:120], -v[8:9]
	s_waitcnt lgkmcnt(2)
	v_mul_f64 v[8:9], v[154:155], v[123:124]
	v_fma_f64 v[94:95], v[152:153], v[121:122], v[8:9]
	v_mul_f64 v[8:9], v[154:155], v[121:122]
	v_fma_f64 v[86:87], v[152:153], v[123:124], -v[8:9]
	s_waitcnt lgkmcnt(1)
	v_mul_f64 v[8:9], v[158:159], v[127:128]
	;; [unrolled: 5-line block ×3, first 2 shown]
	v_fma_f64 v[98:99], v[168:169], v[138:139], v[8:9]
	v_mul_f64 v[8:9], v[170:171], v[138:139]
	v_fma_f64 v[90:91], v[168:169], v[140:141], -v[8:9]
	v_add_f64 v[8:9], v[20:21], v[32:33]
	v_fma_f64 v[20:21], v[30:31], s[4:5], v[10:11]
	v_fma_f64 v[10:11], v[30:31], s[14:15], v[10:11]
	v_add_f64 v[30:31], v[32:33], -v[18:19]
	v_add_f64 v[32:33], v[44:45], -v[14:15]
	v_add_f64 v[8:9], v[8:9], v[44:45]
	v_fma_f64 v[20:21], v[28:29], s[6:7], v[20:21]
	v_fma_f64 v[10:11], v[28:29], s[8:9], v[10:11]
	v_add_f64 v[28:29], v[129:130], v[131:132]
	v_add_f64 v[44:45], v[26:27], -v[131:132]
	v_add_f64 v[8:9], v[8:9], v[14:15]
	v_fma_f64 v[24:25], v[64:65], s[2:3], v[20:21]
	v_fma_f64 v[20:21], v[64:65], s[2:3], v[10:11]
	v_fma_f64 v[28:29], v[28:29], -0.5, v[22:23]
	v_add_f64 v[10:11], v[22:23], v[36:37]
	v_add_f64 v[64:65], v[46:47], -v[52:53]
	v_add_f64 v[8:9], v[8:9], v[18:19]
	v_fma_f64 v[18:19], v[30:31], s[4:5], v[28:29]
	v_add_f64 v[10:11], v[10:11], v[129:130]
	v_fma_f64 v[14:15], v[32:33], s[8:9], v[18:19]
	v_add_f64 v[18:19], v[36:37], -v[129:130]
	v_add_f64 v[10:11], v[10:11], v[131:132]
	v_add_f64 v[44:45], v[18:19], v[44:45]
	;; [unrolled: 1-line block ×3, first 2 shown]
	v_fma_f64 v[18:19], v[44:45], s[2:3], v[14:15]
	v_fma_f64 v[14:15], v[30:31], s[14:15], v[28:29]
	v_add_f64 v[28:29], v[36:37], v[26:27]
	v_add_f64 v[36:37], v[129:130], -v[36:37]
	v_add_f64 v[26:27], v[131:132], -v[26:27]
	v_fma_f64 v[14:15], v[32:33], s[6:7], v[14:15]
	v_fma_f64 v[22:23], v[28:29], -0.5, v[22:23]
	v_add_f64 v[36:37], v[36:37], v[26:27]
	v_fma_f64 v[14:15], v[44:45], s[2:3], v[14:15]
	v_fma_f64 v[28:29], v[32:33], s[14:15], v[22:23]
	v_fma_f64 v[22:23], v[32:33], s[4:5], v[22:23]
	v_add_f64 v[44:45], v[60:61], -v[56:57]
	v_fma_f64 v[28:29], v[30:31], s[8:9], v[28:29]
	v_fma_f64 v[22:23], v[30:31], s[6:7], v[22:23]
	v_add_f64 v[30:31], v[38:39], v[56:57]
	v_fma_f64 v[26:27], v[36:37], s[2:3], v[28:29]
	v_fma_f64 v[22:23], v[36:37], s[2:3], v[22:23]
	v_fma_f64 v[30:31], v[30:31], -0.5, v[40:41]
	v_add_f64 v[36:37], v[34:35], -v[38:39]
	v_add_f64 v[28:29], v[40:41], v[34:35]
	v_fma_f64 v[32:33], v[64:65], s[14:15], v[30:31]
	v_fma_f64 v[30:31], v[64:65], s[4:5], v[30:31]
	v_add_f64 v[44:45], v[36:37], v[44:45]
	v_add_f64 v[28:29], v[28:29], v[38:39]
	v_fma_f64 v[32:33], v[112:113], s[6:7], v[32:33]
	v_fma_f64 v[30:31], v[112:113], s[8:9], v[30:31]
	v_add_f64 v[28:29], v[28:29], v[56:57]
	v_add_f64 v[56:57], v[38:39], -v[56:57]
	v_fma_f64 v[36:37], v[44:45], s[2:3], v[32:33]
	v_fma_f64 v[32:33], v[44:45], s[2:3], v[30:31]
	v_add_f64 v[30:31], v[34:35], v[60:61]
	v_add_f64 v[28:29], v[28:29], v[60:61]
	v_add_f64 v[60:61], v[34:35], -v[60:61]
	v_add_f64 v[44:45], v[38:39], -v[34:35]
	;; [unrolled: 1-line block ×3, first 2 shown]
	v_fma_f64 v[30:31], v[30:31], -0.5, v[40:41]
	v_add_f64 v[114:115], v[44:45], v[114:115]
	v_fma_f64 v[40:41], v[112:113], s[4:5], v[30:31]
	v_fma_f64 v[30:31], v[112:113], s[14:15], v[30:31]
	v_add_f64 v[112:113], v[52:53], -v[50:51]
	v_fma_f64 v[40:41], v[64:65], s[6:7], v[40:41]
	v_fma_f64 v[30:31], v[64:65], s[8:9], v[30:31]
	v_add_f64 v[64:65], v[48:49], v[50:51]
	v_add_f64 v[112:113], v[38:39], v[112:113]
	v_fma_f64 v[44:45], v[114:115], s[2:3], v[40:41]
	v_fma_f64 v[40:41], v[114:115], s[2:3], v[30:31]
	v_fma_f64 v[64:65], v[64:65], -0.5, v[42:43]
	v_add_f64 v[30:31], v[42:43], v[46:47]
	v_add_f64 v[114:115], v[72:73], -v[80:81]
	v_fma_f64 v[34:35], v[60:61], s[4:5], v[64:65]
	v_add_f64 v[30:31], v[30:31], v[48:49]
	v_fma_f64 v[34:35], v[56:57], s[8:9], v[34:35]
	v_add_f64 v[30:31], v[30:31], v[50:51]
	v_fma_f64 v[38:39], v[112:113], s[2:3], v[34:35]
	v_fma_f64 v[34:35], v[60:61], s[14:15], v[64:65]
	v_add_f64 v[64:65], v[46:47], v[52:53]
	v_add_f64 v[46:47], v[48:49], -v[46:47]
	v_add_f64 v[48:49], v[50:51], -v[52:53]
	v_add_f64 v[50:51], v[58:59], v[72:73]
	v_add_f64 v[30:31], v[30:31], v[52:53]
	v_fma_f64 v[34:35], v[56:57], s[6:7], v[34:35]
	v_fma_f64 v[42:43], v[64:65], -0.5, v[42:43]
	v_add_f64 v[48:49], v[46:47], v[48:49]
	v_fma_f64 v[50:51], v[50:51], -0.5, v[76:77]
	v_fma_f64 v[34:35], v[112:113], s[2:3], v[34:35]
	v_fma_f64 v[64:65], v[56:57], s[14:15], v[42:43]
	;; [unrolled: 1-line block ×3, first 2 shown]
	v_add_f64 v[112:113], v[66:67], -v[68:69]
	v_add_f64 v[56:57], v[54:55], -v[58:59]
	v_fma_f64 v[64:65], v[60:61], s[8:9], v[64:65]
	v_fma_f64 v[42:43], v[60:61], s[6:7], v[42:43]
	v_add_f64 v[60:61], v[62:63], -v[70:71]
	v_fma_f64 v[46:47], v[48:49], s[2:3], v[64:65]
	v_add_f64 v[64:65], v[80:81], -v[72:73]
	v_fma_f64 v[52:53], v[60:61], s[14:15], v[50:51]
	v_fma_f64 v[50:51], v[60:61], s[4:5], v[50:51]
	;; [unrolled: 1-line block ×3, first 2 shown]
	v_add_f64 v[48:49], v[76:77], v[54:55]
	v_add_f64 v[64:65], v[56:57], v[64:65]
	v_fma_f64 v[52:53], v[112:113], s[6:7], v[52:53]
	v_fma_f64 v[50:51], v[112:113], s[8:9], v[50:51]
	v_add_f64 v[48:49], v[48:49], v[58:59]
	v_fma_f64 v[56:57], v[64:65], s[2:3], v[52:53]
	v_fma_f64 v[52:53], v[64:65], s[2:3], v[50:51]
	v_add_f64 v[50:51], v[54:55], v[80:81]
	v_add_f64 v[48:49], v[48:49], v[72:73]
	v_add_f64 v[72:73], v[58:59], -v[72:73]
	v_fma_f64 v[50:51], v[50:51], -0.5, v[76:77]
	v_add_f64 v[76:77], v[58:59], -v[54:55]
	v_add_f64 v[48:49], v[48:49], v[80:81]
	v_add_f64 v[80:81], v[54:55], -v[80:81]
	v_add_f64 v[58:59], v[62:63], -v[66:67]
	v_fma_f64 v[64:65], v[112:113], s[4:5], v[50:51]
	v_fma_f64 v[50:51], v[112:113], s[14:15], v[50:51]
	v_add_f64 v[76:77], v[76:77], v[114:115]
	v_add_f64 v[112:113], v[70:71], -v[68:69]
	v_add_f64 v[114:115], v[108:109], -v[110:111]
	v_fma_f64 v[64:65], v[60:61], s[6:7], v[64:65]
	v_fma_f64 v[50:51], v[60:61], s[8:9], v[50:51]
	v_add_f64 v[112:113], v[58:59], v[112:113]
	v_fma_f64 v[64:65], v[76:77], s[2:3], v[64:65]
	v_fma_f64 v[60:61], v[76:77], s[2:3], v[50:51]
	v_add_f64 v[76:77], v[66:67], v[68:69]
	v_add_f64 v[50:51], v[78:79], v[62:63]
	v_fma_f64 v[76:77], v[76:77], -0.5, v[78:79]
	v_add_f64 v[50:51], v[50:51], v[66:67]
	v_fma_f64 v[54:55], v[80:81], s[4:5], v[76:77]
	v_add_f64 v[50:51], v[50:51], v[68:69]
	v_fma_f64 v[54:55], v[72:73], s[8:9], v[54:55]
	;; [unrolled: 2-line block ×3, first 2 shown]
	v_fma_f64 v[54:55], v[80:81], s[14:15], v[76:77]
	v_add_f64 v[76:77], v[62:63], v[70:71]
	v_add_f64 v[62:63], v[66:67], -v[62:63]
	v_add_f64 v[66:67], v[68:69], -v[70:71]
	v_add_f64 v[70:71], v[106:107], v[108:109]
	v_fma_f64 v[54:55], v[72:73], s[6:7], v[54:55]
	v_fma_f64 v[76:77], v[76:77], -0.5, v[78:79]
	v_add_f64 v[62:63], v[62:63], v[66:67]
	v_fma_f64 v[70:71], v[70:71], -0.5, v[4:5]
	v_fma_f64 v[54:55], v[112:113], s[2:3], v[54:55]
	v_fma_f64 v[78:79], v[72:73], s[14:15], v[76:77]
	;; [unrolled: 1-line block ×3, first 2 shown]
	v_add_f64 v[112:113], v[100:101], -v[102:103]
	v_add_f64 v[76:77], v[74:75], -v[106:107]
	v_fma_f64 v[78:79], v[80:81], s[8:9], v[78:79]
	v_fma_f64 v[68:69], v[80:81], s[6:7], v[68:69]
	v_add_f64 v[80:81], v[110:111], -v[108:109]
	v_fma_f64 v[66:67], v[62:63], s[2:3], v[78:79]
	v_add_f64 v[78:79], v[82:83], -v[104:105]
	v_add_f64 v[80:81], v[76:77], v[80:81]
	v_fma_f64 v[62:63], v[62:63], s[2:3], v[68:69]
	v_add_f64 v[68:69], v[4:5], v[74:75]
	v_fma_f64 v[72:73], v[78:79], s[14:15], v[70:71]
	v_fma_f64 v[70:71], v[78:79], s[4:5], v[70:71]
	v_add_f64 v[68:69], v[68:69], v[106:107]
	v_fma_f64 v[72:73], v[112:113], s[6:7], v[72:73]
	;; [unrolled: 3-line block ×3, first 2 shown]
	v_fma_f64 v[72:73], v[80:81], s[2:3], v[70:71]
	v_add_f64 v[70:71], v[74:75], v[110:111]
	v_add_f64 v[68:69], v[68:69], v[110:111]
	v_add_f64 v[110:111], v[74:75], -v[110:111]
	v_add_f64 v[80:81], v[106:107], -v[74:75]
	;; [unrolled: 1-line block ×4, first 2 shown]
	v_fma_f64 v[4:5], v[70:71], -0.5, v[4:5]
	v_add_f64 v[114:115], v[80:81], v[114:115]
	v_fma_f64 v[70:71], v[112:113], s[4:5], v[4:5]
	v_fma_f64 v[4:5], v[112:113], s[14:15], v[4:5]
	v_fma_f64 v[70:71], v[78:79], s[6:7], v[70:71]
	v_fma_f64 v[4:5], v[78:79], s[8:9], v[4:5]
	v_add_f64 v[78:79], v[100:101], v[102:103]
	v_fma_f64 v[80:81], v[114:115], s[2:3], v[70:71]
	v_add_f64 v[70:71], v[6:7], v[82:83]
	v_fma_f64 v[112:113], v[78:79], -0.5, v[6:7]
	v_add_f64 v[78:79], v[82:83], -v[100:101]
	v_fma_f64 v[4:5], v[114:115], s[2:3], v[4:5]
	v_add_f64 v[114:115], v[96:97], -v[98:99]
	v_add_f64 v[70:71], v[70:71], v[100:101]
	v_fma_f64 v[74:75], v[110:111], s[4:5], v[112:113]
	v_add_f64 v[108:109], v[78:79], v[108:109]
	v_add_f64 v[70:71], v[70:71], v[102:103]
	v_fma_f64 v[74:75], v[106:107], s[8:9], v[74:75]
	v_add_f64 v[70:71], v[70:71], v[104:105]
	v_fma_f64 v[78:79], v[108:109], s[2:3], v[74:75]
	v_fma_f64 v[74:75], v[110:111], s[14:15], v[112:113]
	v_add_f64 v[112:113], v[98:99], -v[96:97]
	v_fma_f64 v[74:75], v[106:107], s[6:7], v[74:75]
	v_fma_f64 v[74:75], v[108:109], s[2:3], v[74:75]
	v_add_f64 v[108:109], v[82:83], v[104:105]
	v_add_f64 v[82:83], v[100:101], -v[82:83]
	v_add_f64 v[100:101], v[102:103], -v[104:105]
	v_add_f64 v[102:103], v[94:95], v[96:97]
	v_fma_f64 v[6:7], v[108:109], -0.5, v[6:7]
	v_add_f64 v[100:101], v[82:83], v[100:101]
	v_fma_f64 v[102:103], v[102:103], -0.5, v[0:1]
	v_fma_f64 v[108:109], v[106:107], s[14:15], v[6:7]
	v_fma_f64 v[6:7], v[106:107], s[4:5], v[6:7]
	v_add_f64 v[106:107], v[84:85], -v[90:91]
	v_fma_f64 v[108:109], v[110:111], s[8:9], v[108:109]
	v_fma_f64 v[6:7], v[110:111], s[6:7], v[6:7]
	;; [unrolled: 1-line block ×3, first 2 shown]
	v_add_f64 v[110:111], v[86:87], -v[88:89]
	v_fma_f64 v[102:103], v[106:107], s[4:5], v[102:103]
	v_fma_f64 v[82:83], v[100:101], s[2:3], v[108:109]
	v_add_f64 v[108:109], v[92:93], -v[94:95]
	v_fma_f64 v[6:7], v[100:101], s[2:3], v[6:7]
	v_fma_f64 v[104:105], v[110:111], s[6:7], v[104:105]
	;; [unrolled: 1-line block ×3, first 2 shown]
	v_add_f64 v[100:101], v[0:1], v[92:93]
	v_add_f64 v[108:109], v[108:109], v[112:113]
	v_add_f64 v[112:113], v[94:95], -v[92:93]
	v_add_f64 v[100:101], v[100:101], v[94:95]
	v_add_f64 v[94:95], v[94:95], -v[96:97]
	v_fma_f64 v[104:105], v[108:109], s[2:3], v[104:105]
	v_fma_f64 v[108:109], v[108:109], s[2:3], v[102:103]
	v_add_f64 v[102:103], v[92:93], v[98:99]
	v_add_f64 v[92:93], v[92:93], -v[98:99]
	v_add_f64 v[100:101], v[100:101], v[96:97]
	v_add_f64 v[112:113], v[112:113], v[114:115]
	v_fma_f64 v[102:103], v[102:103], -0.5, v[0:1]
	v_add_f64 v[100:101], v[100:101], v[98:99]
	v_fma_f64 v[0:1], v[110:111], s[4:5], v[102:103]
	v_fma_f64 v[102:103], v[110:111], s[14:15], v[102:103]
	;; [unrolled: 1-line block ×4, first 2 shown]
	v_add_f64 v[106:107], v[86:87], v[88:89]
	v_fma_f64 v[0:1], v[112:113], s[2:3], v[0:1]
	v_fma_f64 v[112:113], v[112:113], s[2:3], v[102:103]
	v_fma_f64 v[110:111], v[106:107], -0.5, v[2:3]
	v_add_f64 v[106:107], v[90:91], -v[88:89]
	v_add_f64 v[102:103], v[2:3], v[84:85]
	v_fma_f64 v[98:99], v[92:93], s[4:5], v[110:111]
	v_add_f64 v[102:103], v[102:103], v[86:87]
	v_fma_f64 v[96:97], v[94:95], s[8:9], v[98:99]
	v_add_f64 v[98:99], v[84:85], -v[86:87]
	v_add_f64 v[102:103], v[102:103], v[88:89]
	v_add_f64 v[98:99], v[98:99], v[106:107]
	;; [unrolled: 1-line block ×3, first 2 shown]
	v_fma_f64 v[106:107], v[98:99], s[2:3], v[96:97]
	v_fma_f64 v[96:97], v[92:93], s[14:15], v[110:111]
	;; [unrolled: 1-line block ×4, first 2 shown]
	v_add_f64 v[96:97], v[84:85], v[90:91]
	v_add_f64 v[84:85], v[86:87], -v[84:85]
	v_add_f64 v[86:87], v[88:89], -v[90:91]
	v_fma_f64 v[96:97], v[96:97], -0.5, v[2:3]
	v_add_f64 v[84:85], v[84:85], v[86:87]
	v_fma_f64 v[2:3], v[94:95], s[14:15], v[96:97]
	v_fma_f64 v[86:87], v[94:95], s[4:5], v[96:97]
	;; [unrolled: 1-line block ×4, first 2 shown]
	s_mul_hi_u32 s6, s0, 0xffff6b90
	s_sub_i32 s6, s6, s0
	v_fma_f64 v[2:3], v[84:85], s[2:3], v[2:3]
	v_fma_f64 v[114:115], v[84:85], s[2:3], v[86:87]
	ds_write_b128 v116, v[8:11]
	ds_write_b128 v116, v[16:19] offset:10000
	ds_write_b128 v116, v[24:27] offset:20000
	;; [unrolled: 1-line block ×24, first 2 shown]
	s_waitcnt lgkmcnt(0)
	s_barrier
	ds_read_b128 v[0:3], v116
	buffer_load_dword v6, off, s[24:27], 0 offset:280 ; 4-byte Folded Reload
	buffer_load_dword v7, off, s[24:27], 0 offset:284 ; 4-byte Folded Reload
	;; [unrolled: 1-line block ×4, first 2 shown]
	s_mov_b32 s2, 0x88e368f1
	s_mov_b32 s3, 0x3f34f8b5
	s_waitcnt vmcnt(0) lgkmcnt(0)
	v_mul_f64 v[4:5], v[8:9], v[2:3]
	v_fma_f64 v[4:5], v[6:7], v[0:1], v[4:5]
	v_mul_f64 v[0:1], v[8:9], v[0:1]
	v_mov_b32_e32 v8, s13
	v_mul_f64 v[4:5], v[4:5], s[2:3]
	v_fma_f64 v[0:1], v[6:7], v[2:3], -v[0:1]
	buffer_load_dword v2, off, s[24:27], 0 offset:408 ; 4-byte Folded Reload
	v_mul_f64 v[6:7], v[0:1], s[2:3]
	s_waitcnt vmcnt(0)
	v_mad_u64_u32 v[0:1], s[4:5], s0, v2, 0
	v_mad_u64_u32 v[1:2], s[4:5], s1, v2, v[1:2]
	buffer_load_dword v2, off, s[24:27], 0 offset:48 ; 4-byte Folded Reload
	buffer_load_dword v3, off, s[24:27], 0 offset:52 ; 4-byte Folded Reload
	s_mul_i32 s4, s1, 0x2710
	v_lshlrev_b64 v[0:1], 4, v[0:1]
	s_mul_hi_u32 s5, s0, 0x2710
	s_add_i32 s4, s5, s4
	s_mul_i32 s5, s0, 0x2710
	s_mul_i32 s1, s1, 0xffff6b90
	s_add_i32 s1, s6, s1
	s_mul_i32 s0, s0, 0xffff6b90
	s_waitcnt vmcnt(0)
	v_lshlrev_b64 v[2:3], 4, v[2:3]
	v_add_co_u32_e32 v2, vcc, s12, v2
	v_addc_co_u32_e32 v3, vcc, v8, v3, vcc
	v_add_co_u32_e32 v8, vcc, v2, v0
	v_addc_co_u32_e32 v9, vcc, v3, v1, vcc
	global_store_dwordx4 v[8:9], v[4:7], off
	ds_read_b128 v[0:3], v116 offset:10000
	buffer_load_dword v10, off, s[24:27], 0 offset:312 ; 4-byte Folded Reload
	buffer_load_dword v11, off, s[24:27], 0 offset:316 ; 4-byte Folded Reload
	buffer_load_dword v12, off, s[24:27], 0 offset:320 ; 4-byte Folded Reload
	buffer_load_dword v13, off, s[24:27], 0 offset:324 ; 4-byte Folded Reload
	v_add_co_u32_e32 v8, vcc, s5, v8
	s_waitcnt vmcnt(0) lgkmcnt(0)
	v_mul_f64 v[4:5], v[12:13], v[2:3]
	v_fma_f64 v[4:5], v[10:11], v[0:1], v[4:5]
	v_mul_f64 v[0:1], v[12:13], v[0:1]
	v_mul_f64 v[4:5], v[4:5], s[2:3]
	v_fma_f64 v[0:1], v[10:11], v[2:3], -v[0:1]
	v_mul_f64 v[6:7], v[0:1], s[2:3]
	v_mov_b32_e32 v0, s4
	v_addc_co_u32_e32 v9, vcc, v9, v0, vcc
	ds_read_b128 v[0:3], v116 offset:20000
	global_store_dwordx4 v[8:9], v[4:7], off
	buffer_load_dword v10, off, s[24:27], 0 offset:360 ; 4-byte Folded Reload
	buffer_load_dword v11, off, s[24:27], 0 offset:364 ; 4-byte Folded Reload
	buffer_load_dword v12, off, s[24:27], 0 offset:368 ; 4-byte Folded Reload
	buffer_load_dword v13, off, s[24:27], 0 offset:372 ; 4-byte Folded Reload
	v_add_co_u32_e32 v8, vcc, s5, v8
	s_waitcnt vmcnt(0) lgkmcnt(0)
	v_mul_f64 v[4:5], v[12:13], v[2:3]
	v_fma_f64 v[4:5], v[10:11], v[0:1], v[4:5]
	v_mul_f64 v[0:1], v[12:13], v[0:1]
	v_mul_f64 v[4:5], v[4:5], s[2:3]
	v_fma_f64 v[0:1], v[10:11], v[2:3], -v[0:1]
	v_mul_f64 v[6:7], v[0:1], s[2:3]
	v_mov_b32_e32 v0, s4
	v_addc_co_u32_e32 v9, vcc, v9, v0, vcc
	ds_read_b128 v[0:3], v116 offset:30000
	global_store_dwordx4 v[8:9], v[4:7], off
	;; [unrolled: 16-line block ×19, first 2 shown]
	buffer_load_dword v10, off, s[24:27], 0 ; 4-byte Folded Reload
	buffer_load_dword v11, off, s[24:27], 0 offset:4 ; 4-byte Folded Reload
	buffer_load_dword v12, off, s[24:27], 0 offset:8 ; 4-byte Folded Reload
	buffer_load_dword v13, off, s[24:27], 0 offset:12 ; 4-byte Folded Reload
	v_add_co_u32_e32 v8, vcc, s0, v8
	s_waitcnt vmcnt(0) lgkmcnt(0)
	v_mul_f64 v[4:5], v[12:13], v[2:3]
	v_fma_f64 v[4:5], v[10:11], v[0:1], v[4:5]
	v_mul_f64 v[0:1], v[12:13], v[0:1]
	v_mul_f64 v[4:5], v[4:5], s[2:3]
	v_fma_f64 v[0:1], v[10:11], v[2:3], -v[0:1]
	v_mul_f64 v[6:7], v[0:1], s[2:3]
	v_mov_b32_e32 v0, s1
	v_addc_co_u32_e32 v9, vcc, v9, v0, vcc
	ds_read_b128 v[0:3], v116 offset:18000
	global_store_dwordx4 v[8:9], v[4:7], off
	buffer_load_dword v10, off, s[24:27], 0 offset:72 ; 4-byte Folded Reload
	buffer_load_dword v11, off, s[24:27], 0 offset:76 ; 4-byte Folded Reload
	buffer_load_dword v12, off, s[24:27], 0 offset:80 ; 4-byte Folded Reload
	buffer_load_dword v13, off, s[24:27], 0 offset:84 ; 4-byte Folded Reload
	v_add_co_u32_e32 v8, vcc, s5, v8
	s_waitcnt vmcnt(0) lgkmcnt(0)
	v_mul_f64 v[4:5], v[12:13], v[2:3]
	v_fma_f64 v[4:5], v[10:11], v[0:1], v[4:5]
	v_mul_f64 v[0:1], v[12:13], v[0:1]
	v_mul_f64 v[4:5], v[4:5], s[2:3]
	v_fma_f64 v[0:1], v[10:11], v[2:3], -v[0:1]
	v_mul_f64 v[6:7], v[0:1], s[2:3]
	v_mov_b32_e32 v0, s4
	v_addc_co_u32_e32 v9, vcc, v9, v0, vcc
	ds_read_b128 v[0:3], v116 offset:28000
	global_store_dwordx4 v[8:9], v[4:7], off
	buffer_load_dword v10, off, s[24:27], 0 offset:16 ; 4-byte Folded Reload
	;; [unrolled: 16-line block ×4, first 2 shown]
	buffer_load_dword v11, off, s[24:27], 0 offset:60 ; 4-byte Folded Reload
	buffer_load_dword v12, off, s[24:27], 0 offset:64 ; 4-byte Folded Reload
	;; [unrolled: 1-line block ×3, first 2 shown]
	s_waitcnt vmcnt(0) lgkmcnt(0)
	v_mul_f64 v[4:5], v[12:13], v[2:3]
	v_fma_f64 v[4:5], v[10:11], v[0:1], v[4:5]
	v_mul_f64 v[0:1], v[12:13], v[0:1]
	v_mul_f64 v[4:5], v[4:5], s[2:3]
	v_fma_f64 v[0:1], v[10:11], v[2:3], -v[0:1]
	v_mul_f64 v[6:7], v[0:1], s[2:3]
	v_add_co_u32_e32 v0, vcc, s5, v8
	v_mov_b32_e32 v1, s4
	v_addc_co_u32_e32 v1, vcc, v9, v1, vcc
	global_store_dwordx4 v[0:1], v[4:7], off
.LBB0_2:
	s_endpgm
	.section	.rodata,"a",@progbits
	.p2align	6, 0x0
	.amdhsa_kernel bluestein_single_fwd_len3125_dim1_dp_op_CI_CI
		.amdhsa_group_segment_fixed_size 50000
		.amdhsa_private_segment_fixed_size 1220
		.amdhsa_kernarg_size 104
		.amdhsa_user_sgpr_count 6
		.amdhsa_user_sgpr_private_segment_buffer 1
		.amdhsa_user_sgpr_dispatch_ptr 0
		.amdhsa_user_sgpr_queue_ptr 0
		.amdhsa_user_sgpr_kernarg_segment_ptr 1
		.amdhsa_user_sgpr_dispatch_id 0
		.amdhsa_user_sgpr_flat_scratch_init 0
		.amdhsa_user_sgpr_private_segment_size 0
		.amdhsa_uses_dynamic_stack 0
		.amdhsa_system_sgpr_private_segment_wavefront_offset 1
		.amdhsa_system_sgpr_workgroup_id_x 1
		.amdhsa_system_sgpr_workgroup_id_y 0
		.amdhsa_system_sgpr_workgroup_id_z 0
		.amdhsa_system_sgpr_workgroup_info 0
		.amdhsa_system_vgpr_workitem_id 0
		.amdhsa_next_free_vgpr 256
		.amdhsa_next_free_sgpr 28
		.amdhsa_reserve_vcc 1
		.amdhsa_reserve_flat_scratch 0
		.amdhsa_float_round_mode_32 0
		.amdhsa_float_round_mode_16_64 0
		.amdhsa_float_denorm_mode_32 3
		.amdhsa_float_denorm_mode_16_64 3
		.amdhsa_dx10_clamp 1
		.amdhsa_ieee_mode 1
		.amdhsa_fp16_overflow 0
		.amdhsa_exception_fp_ieee_invalid_op 0
		.amdhsa_exception_fp_denorm_src 0
		.amdhsa_exception_fp_ieee_div_zero 0
		.amdhsa_exception_fp_ieee_overflow 0
		.amdhsa_exception_fp_ieee_underflow 0
		.amdhsa_exception_fp_ieee_inexact 0
		.amdhsa_exception_int_div_zero 0
	.end_amdhsa_kernel
	.text
.Lfunc_end0:
	.size	bluestein_single_fwd_len3125_dim1_dp_op_CI_CI, .Lfunc_end0-bluestein_single_fwd_len3125_dim1_dp_op_CI_CI
                                        ; -- End function
	.section	.AMDGPU.csdata,"",@progbits
; Kernel info:
; codeLenInByte = 45220
; NumSgprs: 32
; NumVgprs: 256
; ScratchSize: 1220
; MemoryBound: 0
; FloatMode: 240
; IeeeMode: 1
; LDSByteSize: 50000 bytes/workgroup (compile time only)
; SGPRBlocks: 3
; VGPRBlocks: 63
; NumSGPRsForWavesPerEU: 32
; NumVGPRsForWavesPerEU: 256
; Occupancy: 1
; WaveLimiterHint : 1
; COMPUTE_PGM_RSRC2:SCRATCH_EN: 1
; COMPUTE_PGM_RSRC2:USER_SGPR: 6
; COMPUTE_PGM_RSRC2:TRAP_HANDLER: 0
; COMPUTE_PGM_RSRC2:TGID_X_EN: 1
; COMPUTE_PGM_RSRC2:TGID_Y_EN: 0
; COMPUTE_PGM_RSRC2:TGID_Z_EN: 0
; COMPUTE_PGM_RSRC2:TIDIG_COMP_CNT: 0
	.type	__hip_cuid_204c073eefa61bfa,@object ; @__hip_cuid_204c073eefa61bfa
	.section	.bss,"aw",@nobits
	.globl	__hip_cuid_204c073eefa61bfa
__hip_cuid_204c073eefa61bfa:
	.byte	0                               ; 0x0
	.size	__hip_cuid_204c073eefa61bfa, 1

	.ident	"AMD clang version 19.0.0git (https://github.com/RadeonOpenCompute/llvm-project roc-6.4.0 25133 c7fe45cf4b819c5991fe208aaa96edf142730f1d)"
	.section	".note.GNU-stack","",@progbits
	.addrsig
	.addrsig_sym __hip_cuid_204c073eefa61bfa
	.amdgpu_metadata
---
amdhsa.kernels:
  - .args:
      - .actual_access:  read_only
        .address_space:  global
        .offset:         0
        .size:           8
        .value_kind:     global_buffer
      - .actual_access:  read_only
        .address_space:  global
        .offset:         8
        .size:           8
        .value_kind:     global_buffer
      - .actual_access:  read_only
        .address_space:  global
        .offset:         16
        .size:           8
        .value_kind:     global_buffer
      - .actual_access:  read_only
        .address_space:  global
        .offset:         24
        .size:           8
        .value_kind:     global_buffer
      - .actual_access:  read_only
        .address_space:  global
        .offset:         32
        .size:           8
        .value_kind:     global_buffer
      - .offset:         40
        .size:           8
        .value_kind:     by_value
      - .address_space:  global
        .offset:         48
        .size:           8
        .value_kind:     global_buffer
      - .address_space:  global
        .offset:         56
        .size:           8
        .value_kind:     global_buffer
      - .address_space:  global
        .offset:         64
        .size:           8
        .value_kind:     global_buffer
      - .address_space:  global
        .offset:         72
        .size:           8
        .value_kind:     global_buffer
      - .offset:         80
        .size:           4
        .value_kind:     by_value
      - .address_space:  global
        .offset:         88
        .size:           8
        .value_kind:     global_buffer
      - .address_space:  global
        .offset:         96
        .size:           8
        .value_kind:     global_buffer
    .group_segment_fixed_size: 50000
    .kernarg_segment_align: 8
    .kernarg_segment_size: 104
    .language:       OpenCL C
    .language_version:
      - 2
      - 0
    .max_flat_workgroup_size: 125
    .name:           bluestein_single_fwd_len3125_dim1_dp_op_CI_CI
    .private_segment_fixed_size: 1220
    .sgpr_count:     32
    .sgpr_spill_count: 0
    .symbol:         bluestein_single_fwd_len3125_dim1_dp_op_CI_CI.kd
    .uniform_work_group_size: 1
    .uses_dynamic_stack: false
    .vgpr_count:     256
    .vgpr_spill_count: 304
    .wavefront_size: 64
amdhsa.target:   amdgcn-amd-amdhsa--gfx906
amdhsa.version:
  - 1
  - 2
...

	.end_amdgpu_metadata
